;; amdgpu-corpus repo=pytorch/pytorch kind=compiled arch=gfx90a opt=O3
	.text
	.amdgcn_target "amdgcn-amd-amdhsa--gfx90a"
	.amdhsa_code_object_version 6
	.section	.text._ZN2at6native12_GLOBAL__N_143distribution_elementwise_grid_stride_kernelIdLi2EZNS0_9templates4cuda21uniform_and_transformIddPNS_17CUDAGeneratorImplEZZZNS4_13cauchy_kernelIS7_EEvRNS_18TensorIteratorBaseEddT_ENKUlvE_clEvENKUlvE_clEvEUldE_EEvSA_T1_T2_EUlP25hiprandStatePhilox4_32_10E_ZNS1_27distribution_nullary_kernelIdd15HIP_vector_typeIdLj2EES7_SJ_SE_EEvSA_SG_RKT3_T4_EUlidE_EEvlNS_15PhiloxCudaStateESF_SG_,"axG",@progbits,_ZN2at6native12_GLOBAL__N_143distribution_elementwise_grid_stride_kernelIdLi2EZNS0_9templates4cuda21uniform_and_transformIddPNS_17CUDAGeneratorImplEZZZNS4_13cauchy_kernelIS7_EEvRNS_18TensorIteratorBaseEddT_ENKUlvE_clEvENKUlvE_clEvEUldE_EEvSA_T1_T2_EUlP25hiprandStatePhilox4_32_10E_ZNS1_27distribution_nullary_kernelIdd15HIP_vector_typeIdLj2EES7_SJ_SE_EEvSA_SG_RKT3_T4_EUlidE_EEvlNS_15PhiloxCudaStateESF_SG_,comdat
	.globl	_ZN2at6native12_GLOBAL__N_143distribution_elementwise_grid_stride_kernelIdLi2EZNS0_9templates4cuda21uniform_and_transformIddPNS_17CUDAGeneratorImplEZZZNS4_13cauchy_kernelIS7_EEvRNS_18TensorIteratorBaseEddT_ENKUlvE_clEvENKUlvE_clEvEUldE_EEvSA_T1_T2_EUlP25hiprandStatePhilox4_32_10E_ZNS1_27distribution_nullary_kernelIdd15HIP_vector_typeIdLj2EES7_SJ_SE_EEvSA_SG_RKT3_T4_EUlidE_EEvlNS_15PhiloxCudaStateESF_SG_ ; -- Begin function _ZN2at6native12_GLOBAL__N_143distribution_elementwise_grid_stride_kernelIdLi2EZNS0_9templates4cuda21uniform_and_transformIddPNS_17CUDAGeneratorImplEZZZNS4_13cauchy_kernelIS7_EEvRNS_18TensorIteratorBaseEddT_ENKUlvE_clEvENKUlvE_clEvEUldE_EEvSA_T1_T2_EUlP25hiprandStatePhilox4_32_10E_ZNS1_27distribution_nullary_kernelIdd15HIP_vector_typeIdLj2EES7_SJ_SE_EEvSA_SG_RKT3_T4_EUlidE_EEvlNS_15PhiloxCudaStateESF_SG_
	.p2align	8
	.type	_ZN2at6native12_GLOBAL__N_143distribution_elementwise_grid_stride_kernelIdLi2EZNS0_9templates4cuda21uniform_and_transformIddPNS_17CUDAGeneratorImplEZZZNS4_13cauchy_kernelIS7_EEvRNS_18TensorIteratorBaseEddT_ENKUlvE_clEvENKUlvE_clEvEUldE_EEvSA_T1_T2_EUlP25hiprandStatePhilox4_32_10E_ZNS1_27distribution_nullary_kernelIdd15HIP_vector_typeIdLj2EES7_SJ_SE_EEvSA_SG_RKT3_T4_EUlidE_EEvlNS_15PhiloxCudaStateESF_SG_,@function
_ZN2at6native12_GLOBAL__N_143distribution_elementwise_grid_stride_kernelIdLi2EZNS0_9templates4cuda21uniform_and_transformIddPNS_17CUDAGeneratorImplEZZZNS4_13cauchy_kernelIS7_EEvRNS_18TensorIteratorBaseEddT_ENKUlvE_clEvENKUlvE_clEvEUldE_EEvSA_T1_T2_EUlP25hiprandStatePhilox4_32_10E_ZNS1_27distribution_nullary_kernelIdd15HIP_vector_typeIdLj2EES7_SJ_SE_EEvSA_SG_RKT3_T4_EUlidE_EEvlNS_15PhiloxCudaStateESF_SG_: ; @_ZN2at6native12_GLOBAL__N_143distribution_elementwise_grid_stride_kernelIdLi2EZNS0_9templates4cuda21uniform_and_transformIddPNS_17CUDAGeneratorImplEZZZNS4_13cauchy_kernelIS7_EEvRNS_18TensorIteratorBaseEddT_ENKUlvE_clEvENKUlvE_clEvEUldE_EEvSA_T1_T2_EUlP25hiprandStatePhilox4_32_10E_ZNS1_27distribution_nullary_kernelIdd15HIP_vector_typeIdLj2EES7_SJ_SE_EEvSA_SG_RKT3_T4_EUlidE_EEvlNS_15PhiloxCudaStateESF_SG_
; %bb.0:
	s_load_dword s2, s[4:5], 0x20
	s_load_dwordx2 s[0:1], s[4:5], 0x10
	s_load_dwordx4 s[8:11], s[4:5], 0x0
	s_waitcnt lgkmcnt(0)
	s_bitcmp0_b32 s2, 0
	s_mov_b32 s2, 0
	v_pk_mov_b32 v[2:3], s[0:1], s[0:1] op_sel:[0,1]
	v_pk_mov_b32 v[10:11], s[10:11], s[10:11] op_sel:[0,1]
	s_cbranch_scc1 .LBB0_2
; %bb.1:
	v_pk_mov_b32 v[2:3], s[0:1], s[0:1] op_sel:[0,1]
	flat_load_dwordx2 v[2:3], v[2:3]
	v_pk_mov_b32 v[4:5], s[10:11], s[10:11] op_sel:[0,1]
	flat_load_dwordx2 v[10:11], v[4:5]
	s_load_dwordx2 s[0:1], s[4:5], 0x18
	s_waitcnt lgkmcnt(0)
	v_mov_b32_e32 v1, s1
	s_waitcnt vmcnt(0)
	v_add_co_u32_e32 v2, vcc, s0, v2
	v_addc_co_u32_e32 v3, vcc, v3, v1, vcc
.LBB0_2:
	s_load_dword s0, s[4:5], 0x5c
	s_load_dword s16, s[4:5], 0x50
	s_waitcnt lgkmcnt(0)
	s_and_b32 s7, s0, 0xffff
	s_add_u32 s10, s8, -1
	s_mul_i32 s33, s16, s7
	s_addc_u32 s3, s9, -1
	s_lshl_b32 s44, s33, 1
	s_cmp_lg_u64 s[2:3], 0
	s_mov_b64 s[0:1], -1
	s_cbranch_scc0 .LBB0_31
; %bb.3:
	v_cvt_f32_u32_e32 v1, s44
	v_cvt_f32_ubyte0_e32 v4, 0
	s_sub_u32 s2, 0, s44
	s_subb_u32 s11, 0, 0
	v_madmk_f32 v1, v4, 0x4f800000, v1
	v_rcp_f32_e32 v1, v1
	v_mul_f32_e32 v1, 0x5f7ffffc, v1
	v_mul_f32_e32 v4, 0x2f800000, v1
	v_trunc_f32_e32 v4, v4
	v_madmk_f32 v1, v4, 0xcf800000, v1
	v_cvt_u32_f32_e32 v4, v4
	v_cvt_u32_f32_e32 v1, v1
	v_readfirstlane_b32 s12, v4
	v_readfirstlane_b32 s13, v1
	s_mul_i32 s14, s2, s12
	s_mul_hi_u32 s17, s2, s13
	s_mul_i32 s15, s11, s13
	s_add_i32 s14, s17, s14
	s_add_i32 s14, s14, s15
	s_mul_i32 s18, s2, s13
	s_mul_hi_u32 s15, s13, s14
	s_mul_i32 s17, s13, s14
	s_mul_hi_u32 s13, s13, s18
	s_add_u32 s13, s13, s17
	s_addc_u32 s15, 0, s15
	s_mul_hi_u32 s19, s12, s18
	s_mul_i32 s18, s12, s18
	s_add_u32 s13, s13, s18
	s_mul_hi_u32 s17, s12, s14
	s_addc_u32 s13, s15, s19
	s_addc_u32 s15, s17, 0
	s_mul_i32 s14, s12, s14
	s_add_u32 s13, s13, s14
	s_addc_u32 s14, 0, s15
	v_add_co_u32_e32 v1, vcc, s13, v1
	s_cmp_lg_u64 vcc, 0
	s_addc_u32 s12, s12, s14
	v_readfirstlane_b32 s14, v1
	s_mul_i32 s13, s2, s12
	s_mul_hi_u32 s15, s2, s14
	s_add_i32 s13, s15, s13
	s_mul_i32 s11, s11, s14
	s_add_i32 s13, s13, s11
	s_mul_i32 s2, s2, s14
	s_mul_hi_u32 s15, s12, s2
	s_mul_i32 s17, s12, s2
	s_mul_i32 s19, s14, s13
	s_mul_hi_u32 s2, s14, s2
	s_mul_hi_u32 s18, s14, s13
	s_add_u32 s2, s2, s19
	s_addc_u32 s14, 0, s18
	s_add_u32 s2, s2, s17
	s_mul_hi_u32 s11, s12, s13
	s_addc_u32 s2, s14, s15
	s_addc_u32 s11, s11, 0
	s_mul_i32 s13, s12, s13
	s_add_u32 s2, s2, s13
	s_addc_u32 s11, 0, s11
	v_add_co_u32_e32 v1, vcc, s2, v1
	s_cmp_lg_u64 vcc, 0
	s_addc_u32 s11, s12, s11
	s_ashr_i32 s12, s3, 31
	s_add_u32 s2, s10, s12
	s_mov_b32 s13, s12
	s_addc_u32 s3, s3, s12
	s_xor_b64 s[2:3], s[2:3], s[12:13]
	v_readfirstlane_b32 s17, v1
	s_mul_i32 s15, s2, s11
	s_mul_hi_u32 s18, s2, s17
	s_mul_hi_u32 s14, s2, s11
	s_add_u32 s15, s18, s15
	s_addc_u32 s14, 0, s14
	s_mul_hi_u32 s19, s3, s17
	s_mul_i32 s17, s3, s17
	s_add_u32 s15, s15, s17
	s_mul_hi_u32 s18, s3, s11
	s_addc_u32 s14, s14, s19
	s_addc_u32 s15, s18, 0
	s_mul_i32 s11, s3, s11
	s_add_u32 s11, s14, s11
	s_addc_u32 s14, 0, s15
	s_add_u32 s15, s11, 1
	s_addc_u32 s17, s14, 0
	s_add_u32 s18, s11, 2
	s_mul_i32 s20, s44, s14
	s_mul_hi_u32 s21, s44, s11
	s_addc_u32 s19, s14, 0
	s_add_i32 s21, s21, s20
	s_mul_i32 s20, s44, s11
	v_mov_b32_e32 v1, s20
	v_sub_co_u32_e32 v1, vcc, s2, v1
	s_cmp_lg_u64 vcc, 0
	s_subb_u32 s2, s3, s21
	v_subrev_co_u32_e32 v4, vcc, s44, v1
	s_cmp_lg_u64 vcc, 0
	s_subb_u32 s3, s2, 0
	v_readfirstlane_b32 s20, v4
	s_cmp_ge_u32 s20, s44
	s_cselect_b32 s20, -1, 0
	s_cmp_eq_u32 s3, 0
	s_cselect_b32 s3, s20, -1
	s_cmp_lg_u32 s3, 0
	s_cselect_b32 s3, s19, s17
	v_readfirstlane_b32 s17, v1
	s_cselect_b32 s15, s18, s15
	s_cmp_ge_u32 s17, s44
	s_cselect_b32 s17, -1, 0
	s_cmp_eq_u32 s2, 0
	s_cselect_b32 s2, s17, -1
	s_cmp_lg_u32 s2, 0
	s_cselect_b32 s3, s3, s14
	s_cselect_b32 s2, s15, s11
	s_xor_b64 s[2:3], s[2:3], s[12:13]
	s_sub_u32 s2, s2, s12
	s_subb_u32 s3, s3, s12
	s_cbranch_execnz .LBB0_5
.LBB0_4:
	v_cvt_f32_u32_e32 v1, s44
	s_sub_i32 s0, 0, s44
	s_mov_b32 s3, 0
	v_rcp_iflag_f32_e32 v1, v1
	v_mul_f32_e32 v1, 0x4f7ffffe, v1
	v_cvt_u32_f32_e32 v1, v1
	v_readfirstlane_b32 s1, v1
	s_mul_i32 s0, s0, s1
	s_mul_hi_u32 s0, s1, s0
	s_add_i32 s1, s1, s0
	s_mul_hi_u32 s0, s10, s1
	s_mul_i32 s2, s0, s44
	s_sub_i32 s2, s10, s2
	s_add_i32 s1, s0, 1
	s_sub_i32 s10, s2, s44
	s_cmp_ge_u32 s2, s44
	s_cselect_b32 s0, s1, s0
	s_cselect_b32 s2, s10, s2
	s_add_i32 s1, s0, 1
	s_cmp_ge_u32 s2, s44
	s_cselect_b32 s2, s1, s0
.LBB0_5:
	v_mov_b32_e32 v12, 0
	v_mov_b32_e32 v1, v12
	;; [unrolled: 1-line block ×3, first 2 shown]
	v_mad_u64_u32 v[14:15], s[0:1], s7, v4, v[0:1]
	s_add_u32 s0, s2, 1
	s_addc_u32 s1, s3, 0
	s_mul_hi_u32 s2, s16, s7
	s_mul_i32 s1, s33, s1
	s_mul_hi_u32 s3, s33, s0
	s_add_i32 s1, s3, s1
	s_mul_i32 s2, s2, s0
	s_add_i32 s1, s1, s2
	s_mul_i32 s0, s33, s0
	s_lshl_b64 s[2:3], s[0:1], 1
	v_cmp_gt_i64_e32 vcc, s[2:3], v[14:15]
	s_and_saveexec_b64 s[0:1], vcc
	s_cbranch_execz .LBB0_30
; %bb.6:
	v_mov_b32_e32 v4, v11
	s_mov_b32 s0, 0xdb3d7428
	v_add_co_u32_e32 v49, vcc, s0, v4
	s_mov_b32 s0, 0x5384540f
	v_add_co_u32_e32 v50, vcc, s0, v10
	;; [unrolled: 2-line block ×7, first 2 shown]
	s_mov_b32 s0, 0x9e3779b9
	v_alignbit_b32 v57, v3, v2, 2
	s_mov_b32 s46, 0xd2511f53
	v_add_co_u32_e32 v56, vcc, s0, v10
	v_mad_u64_u32 v[6:7], s[0:1], v57, s46, 0
	v_xor_b32_e32 v1, v7, v11
	v_xor_b32_e32 v1, v1, v15
	s_mov_b32 s47, 0xcd9e8d57
	v_mad_u64_u32 v[8:9], s[0:1], v1, s47, 0
	v_xor_b32_e32 v1, v56, v9
	v_mad_u64_u32 v[16:17], s[0:1], v14, s47, 0
	v_and_b32_e32 v46, 3, v2
	v_xor_b32_e32 v1, v1, v16
	v_xor_b32_e32 v2, v10, v17
	v_lshrrev_b32_e32 v58, 2, v3
	v_mad_u64_u32 v[18:19], s[0:1], v1, s46, 0
	v_xor_b32_e32 v2, v2, v58
	v_xor_b32_e32 v1, v55, v19
	v_mad_u64_u32 v[2:3], s[0:1], v2, s46, 0
	v_xor_b32_e32 v1, v1, v2
	v_mad_u64_u32 v[16:17], s[0:1], v1, s47, 0
	s_mov_b32 s0, 0xbb67ae85
	v_add_co_u32_e32 v59, vcc, s0, v4
	v_xor_b32_e32 v2, v59, v3
	v_xor_b32_e32 v2, v2, v6
	v_xor_b32_e32 v1, v54, v17
	v_mad_u64_u32 v[2:3], s[0:1], v2, s47, 0
	v_xor_b32_e32 v1, v1, v2
	v_mad_u64_u32 v[6:7], s[0:1], v1, s46, 0
	s_mov_b32 s0, 0x3c6ef372
	v_add_co_u32_e32 v60, vcc, s0, v10
	v_xor_b32_e32 v2, v60, v3
	;; [unrolled: 8-line block ×7, first 2 shown]
	v_xor_b32_e32 v1, v1, v18
	v_mad_u64_u32 v[2:3], s[0:1], v1, s47, 0
	s_mov_b32 s0, 0xf1bbcdc8
	v_add_u32_e32 v47, 0x8ff34781, v10
	v_xor_b32_e32 v1, v9, v2
	v_add_co_u32_e32 v66, vcc, s0, v10
	s_load_dwordx2 s[10:11], s[4:5], 0x30
	s_load_dword s17, s[4:5], 0x38
	s_load_dwordx4 s[12:15], s[4:5], 0x40
	v_xor_b32_e32 v4, v47, v1
	v_xor_b32_e32 v1, v66, v3
	v_xor_b32_e32 v1, v1, v16
	v_mad_u64_u32 v[2:3], s[0:1], v1, s46, 0
	v_add_u32_e32 v48, 0x96a522ad, v11
	v_xor_b32_e32 v1, v3, v6
	s_mul_i32 s0, s6, s7
	v_xor_b32_e32 v6, v48, v1
	v_add_u32_e32 v1, s0, v0
	s_waitcnt lgkmcnt(0)
	s_mul_i32 s0, s16, s17
	s_mul_i32 s0, s0, s7
	s_lshl_b32 s48, s0, 1
	s_add_i32 s0, s6, s16
	s_mul_i32 s0, s0, s7
	v_add_u32_e32 v0, s0, v0
	s_mov_b32 s45, 0
	v_mul_lo_u32 v67, s17, v1
	v_mul_lo_u32 v68, s17, v0
	s_mov_b32 s6, 0x54442d18
	s_mov_b32 s16, 0
	;; [unrolled: 1-line block ×8, first 2 shown]
	v_mov_b32_e32 v5, v8
	v_mov_b32_e32 v7, v2
	s_mov_b64 s[4:5], 0
	s_mov_b32 s7, 0x400921fb
	s_mov_b32 s17, 0x41d00000
	;; [unrolled: 1-line block ×3, first 2 shown]
	s_movk_i32 s49, 0xff80
	s_mov_b32 s21, 0x7ff00000
	s_mov_b32 s23, 0x3ff921fb
	;; [unrolled: 1-line block ×9, first 2 shown]
	s_movk_i32 s50, 0x1f8
	v_mov_b32_e32 v69, 0x40100000
	v_mov_b32_e32 v70, 0x3ff00000
	;; [unrolled: 1-line block ×29, first 2 shown]
	s_mov_b32 s51, s45
	v_mov_b32_e32 v72, v14
	v_mov_b32_e32 v73, v15
	s_branch .LBB0_9
.LBB0_7:                                ;   in Loop: Header=BB0_9 Depth=1
	s_or_b64 exec, exec, s[0:1]
	v_mul_f64 v[74:75], v[6:7], v[6:7]
	v_fma_f64 v[76:77], v[6:7], v[6:7], -v[74:75]
	v_add_f64 v[78:79], v[8:9], v[8:9]
	v_fmac_f64_e32 v[76:77], v[6:7], v[78:79]
	v_add_f64 v[74:75], v[74:75], v[76:77]
	v_pk_mov_b32 v[76:77], v[16:17], v[16:17] op_sel:[0,1]
	v_fmac_f64_e32 v[76:77], s[38:39], v[74:75]
	v_pk_mov_b32 v[78:79], v[18:19], v[18:19] op_sel:[0,1]
	v_fmac_f64_e32 v[78:79], v[74:75], v[76:77]
	;; [unrolled: 2-line block ×13, first 2 shown]
	v_mul_f64 v[74:75], v[74:75], v[76:77]
	v_mul_f64 v[76:77], v[6:7], v[74:75]
	v_add_f64 v[78:79], v[6:7], v[76:77]
	v_fma_f64 v[74:75], v[6:7], v[74:75], -v[76:77]
	v_add_f64 v[6:7], v[78:79], -v[6:7]
	v_add_f64 v[6:7], v[76:77], -v[6:7]
	v_add_f64 v[8:9], v[8:9], v[74:75]
	v_add_f64 v[6:7], v[8:9], v[6:7]
	;; [unrolled: 1-line block ×3, first 2 shown]
	v_rcp_f64_e32 v[74:75], v[8:9]
	v_add_f64 v[76:77], v[8:9], -v[78:79]
	v_add_f64 v[6:7], v[6:7], -v[76:77]
	v_add_u32_e32 v13, s51, v68
	v_fma_f64 v[76:77], -v[8:9], v[74:75], 1.0
	v_fmac_f64_e32 v[74:75], v[76:77], v[74:75]
	v_fma_f64 v[76:77], -v[8:9], v[74:75], 1.0
	v_fmac_f64_e32 v[74:75], v[76:77], v[74:75]
	v_mul_f64 v[76:77], v[8:9], v[74:75]
	v_fma_f64 v[78:79], v[74:75], v[8:9], -v[76:77]
	v_fmac_f64_e32 v[78:79], v[74:75], v[6:7]
	v_add_f64 v[6:7], v[76:77], v[78:79]
	v_add_f64 v[80:81], -v[6:7], 1.0
	v_add_f64 v[76:77], v[6:7], -v[76:77]
	v_add_f64 v[82:83], -v[80:81], 1.0
	v_add_f64 v[6:7], v[82:83], -v[6:7]
	v_add_f64 v[76:77], v[76:77], -v[78:79]
	v_add_f64 v[6:7], v[76:77], v[6:7]
	v_add_f64 v[6:7], v[80:81], v[6:7]
	v_ashrrev_i32_e32 v43, 31, v13
	v_mov_b32_e32 v45, s11
	v_add_co_u32_e32 v44, vcc, s10, v13
	v_mul_f64 v[6:7], v[74:75], v[6:7]
	v_addc_co_u32_e32 v45, vcc, v45, v43, vcc
	v_and_b32_e32 v3, 1, v3
	v_add_f64 v[6:7], v[74:75], v[6:7]
	v_xor_b32_e32 v7, 0x80000000, v7
	v_cmp_eq_u32_e32 vcc, 0, v3
	v_cndmask_b32_e32 v3, v6, v8, vcc
	v_cndmask_b32_e32 v6, v7, v9, vcc
	v_and_b32_e32 v7, 0x80000000, v5
	v_xor_b32_e32 v6, v6, v7
	v_cmp_class_f64_e64 vcc, v[4:5], s50
	v_cndmask_b32_e32 v4, 0, v3, vcc
	v_cndmask_b32_e32 v5, v71, v6, vcc
	v_pk_mov_b32 v[6:7], s[12:13], s[12:13] op_sel:[0,1]
	v_fma_f64 v[4:5], s[14:15], v[4:5], v[6:7]
	global_store_dwordx2 v[44:45], v[4:5], off
.LBB0_8:                                ;   in Loop: Header=BB0_9 Depth=1
	s_or_b64 exec, exec, s[40:41]
	v_add_co_u32_e32 v14, vcc, s44, v14
	v_mov_b32_e32 v3, v42
	v_addc_co_u32_e32 v15, vcc, 0, v15, vcc
	s_add_i32 s51, s51, s48
	v_cmp_le_i64_e32 vcc, s[2:3], v[14:15]
	v_pk_mov_b32 v[6:7], v[2:3], v[2:3] op_sel:[0,1]
	s_or_b64 s[4:5], vcc, s[4:5]
	v_pk_mov_b32 v[4:5], v[0:1], v[0:1] op_sel:[0,1]
	s_barrier
	s_andn2_b64 exec, exec, s[4:5]
	s_cbranch_execz .LBB0_30
.LBB0_9:                                ; =>This Inner Loop Header: Depth=1
	v_add_co_u32_e32 v57, vcc, 1, v57
	v_cndmask_b32_e64 v0, 0, 1, vcc
	v_addc_co_u32_e32 v58, vcc, 0, v58, vcc
	v_cmp_eq_u32_e32 vcc, 0, v58
	v_cndmask_b32_e32 v0, 0, v0, vcc
	v_add_u32_e32 v72, v0, v72
	v_cmp_eq_u32_e32 vcc, 0, v72
	v_cndmask_b32_e32 v0, 0, v0, vcc
	v_add_u32_e32 v73, v0, v73
	v_mad_u64_u32 v[0:1], s[0:1], v57, s46, 0
	v_mad_u64_u32 v[2:3], s[0:1], v72, s47, 0
	v_xor_b32_e32 v1, v1, v11
	v_xor_b32_e32 v3, v3, v10
	v_xor_b32_e32 v1, v73, v1
	v_xor_b32_e32 v3, v58, v3
	v_mad_u64_u32 v[42:43], s[0:1], v1, s47, 0
	v_mad_u64_u32 v[8:9], s[0:1], v3, s46, 0
	v_xor_b32_e32 v1, v56, v43
	v_xor_b32_e32 v1, v1, v2
	v_xor_b32_e32 v2, v59, v9
	v_xor_b32_e32 v2, v2, v0
	;; [unrolled: 6-line block ×10, first 2 shown]
	v_mov_b32_e32 v1, v8
	v_mov_b32_e32 v2, v9
	v_cmp_lt_i32_e32 vcc, 1, v46
	s_and_saveexec_b64 s[0:1], vcc
	s_xor_b64 s[0:1], exec, s[0:1]
	s_cbranch_execnz .LBB0_12
; %bb.10:                               ;   in Loop: Header=BB0_9 Depth=1
	s_andn2_saveexec_b64 s[0:1], s[0:1]
	s_cbranch_execnz .LBB0_17
.LBB0_11:                               ;   in Loop: Header=BB0_9 Depth=1
	s_or_b64 exec, exec, s[0:1]
	v_cmp_gt_i64_e32 vcc, s[8:9], v[14:15]
	s_and_saveexec_b64 s[40:41], vcc
	s_cbranch_execnz .LBB0_20
	s_branch .LBB0_25
.LBB0_12:                               ;   in Loop: Header=BB0_9 Depth=1
	v_cmp_lt_i32_e32 vcc, 2, v46
	s_and_saveexec_b64 s[40:41], vcc
	s_xor_b64 s[40:41], exec, s[40:41]
; %bb.13:                               ;   in Loop: Header=BB0_9 Depth=1
	v_mov_b32_e32 v6, v7
	v_mov_b32_e32 v7, v0
	v_pk_mov_b32 v[4:5], v[6:7], v[6:7] op_sel:[0,1]
	v_pk_mov_b32 v[6:7], v[8:9], v[8:9] op_sel:[0,1]
                                        ; implicit-def: $vgpr8_vgpr9
; %bb.14:                               ;   in Loop: Header=BB0_9 Depth=1
	s_andn2_saveexec_b64 s[40:41], s[40:41]
; %bb.15:                               ;   in Loop: Header=BB0_9 Depth=1
	v_mov_b32_e32 v4, v6
	v_mov_b32_e32 v5, v7
	;; [unrolled: 1-line block ×4, first 2 shown]
; %bb.16:                               ;   in Loop: Header=BB0_9 Depth=1
	s_or_b64 exec, exec, s[40:41]
	s_andn2_saveexec_b64 s[0:1], s[0:1]
	s_cbranch_execz .LBB0_11
.LBB0_17:                               ;   in Loop: Header=BB0_9 Depth=1
	v_cmp_eq_u32_e32 vcc, 1, v46
	s_and_saveexec_b64 s[40:41], vcc
; %bb.18:                               ;   in Loop: Header=BB0_9 Depth=1
	v_mov_b32_e32 v4, v5
	v_mov_b32_e32 v5, v6
	;; [unrolled: 1-line block ×4, first 2 shown]
; %bb.19:                               ;   in Loop: Header=BB0_9 Depth=1
	s_or_b64 exec, exec, s[40:41]
	s_or_b64 exec, exec, s[0:1]
	v_cmp_gt_i64_e32 vcc, s[8:9], v[14:15]
	s_and_saveexec_b64 s[40:41], vcc
	s_cbranch_execz .LBB0_25
.LBB0_20:                               ;   in Loop: Header=BB0_9 Depth=1
	v_lshrrev_b32_e32 v3, 11, v5
	v_cvt_f64_u32_e32 v[8:9], v3
	v_ldexp_f64 v[8:9], v[8:9], 32
	v_cvt_f64_u32_e32 v[4:5], v4
	v_add_f64 v[4:5], v[8:9], v[4:5]
	v_mov_b32_e32 v8, 0
	v_mov_b32_e32 v9, 0x3ca00000
	v_fmac_f64_e32 v[8:9], 0x3ca00000, v[4:5]
	v_add_f64 v[4:5], v[8:9], -0.5
	v_mul_f64 v[4:5], v[4:5], s[6:7]
	v_cmp_nlt_f64_e64 s[0:1], |v[4:5]|, s[16:17]
                                        ; implicit-def: $vgpr3
                                        ; implicit-def: $vgpr8_vgpr9
                                        ; implicit-def: $vgpr44_vgpr45
	s_and_saveexec_b64 s[42:43], s[0:1]
	s_xor_b64 s[42:43], exec, s[42:43]
	s_cbranch_execz .LBB0_22
; %bb.21:                               ;   in Loop: Header=BB0_9 Depth=1
	v_and_b32_e32 v3, 0x7fffffff, v5
	v_ldexp_f64 v[74:75], |v[4:5]|, s49
	v_cmp_ge_f64_e64 vcc, |v[4:5]|, s[18:19]
	v_trig_preop_f64 v[8:9], |v[4:5]|, 0
	v_cndmask_b32_e32 v75, v3, v75, vcc
	v_cndmask_b32_e32 v74, v4, v74, vcc
	v_trig_preop_f64 v[44:45], |v[4:5]|, 1
	v_mul_f64 v[78:79], v[8:9], v[74:75]
	v_mul_f64 v[76:77], v[44:45], v[74:75]
	v_fma_f64 v[8:9], v[8:9], v[74:75], -v[78:79]
	v_add_f64 v[80:81], v[76:77], v[8:9]
	v_add_f64 v[82:83], v[78:79], v[80:81]
	v_ldexp_f64 v[84:85], v[82:83], -2
	v_fract_f64_e32 v[86:87], v[84:85]
	v_cmp_neq_f64_e64 vcc, |v[84:85]|, s[20:21]
	v_cndmask_b32_e32 v85, 0, v87, vcc
	v_cndmask_b32_e32 v84, 0, v86, vcc
	v_add_f64 v[86:87], v[80:81], -v[76:77]
	v_add_f64 v[8:9], v[8:9], -v[86:87]
	;; [unrolled: 1-line block ×4, first 2 shown]
	v_fma_f64 v[44:45], v[44:45], v[74:75], -v[76:77]
	v_trig_preop_f64 v[76:77], |v[4:5]|, 2
	v_add_f64 v[8:9], v[8:9], v[86:87]
	v_mul_f64 v[86:87], v[76:77], v[74:75]
	v_add_f64 v[88:89], v[86:87], v[44:45]
	v_add_f64 v[90:91], v[88:89], v[8:9]
	v_add_f64 v[78:79], v[82:83], -v[78:79]
	v_add_f64 v[82:83], v[90:91], -v[88:89]
	;; [unrolled: 1-line block ×5, first 2 shown]
	v_add_f64 v[8:9], v[8:9], v[82:83]
	v_add_f64 v[82:83], v[88:89], -v[86:87]
	v_add_f64 v[44:45], v[44:45], -v[82:83]
	;; [unrolled: 1-line block ×4, first 2 shown]
	v_add_f64 v[44:45], v[44:45], v[82:83]
	v_add_f64 v[78:79], v[80:81], -v[78:79]
	v_add_f64 v[8:9], v[44:45], v[8:9]
	v_fma_f64 v[44:45], v[76:77], v[74:75], -v[86:87]
	v_add_f64 v[80:81], v[78:79], v[90:91]
	v_add_f64 v[8:9], v[44:45], v[8:9]
	v_ldexp_f64 v[44:45], v[84:85], 2
	v_add_f64 v[74:75], v[80:81], v[44:45]
	v_cmp_gt_f64_e32 vcc, 0, v[74:75]
	v_cndmask_b32_e32 v13, 0, v69, vcc
	v_add_f64 v[44:45], v[44:45], v[12:13]
	v_add_f64 v[74:75], v[80:81], v[44:45]
	v_cvt_i32_f64_e32 v3, v[74:75]
	v_cvt_f64_i32_e32 v[74:75], v3
	v_add_f64 v[44:45], v[44:45], -v[74:75]
	v_add_f64 v[78:79], v[80:81], -v[78:79]
	v_add_f64 v[74:75], v[80:81], v[44:45]
	v_add_f64 v[78:79], v[90:91], -v[78:79]
	v_add_f64 v[44:45], v[74:75], -v[44:45]
	v_cmp_le_f64_e32 vcc, 0.5, v[74:75]
	v_add_f64 v[8:9], v[78:79], v[8:9]
	v_add_f64 v[44:45], v[80:81], -v[44:45]
	v_cndmask_b32_e32 v13, 0, v70, vcc
	v_add_f64 v[8:9], v[8:9], v[44:45]
	v_add_f64 v[44:45], v[74:75], -v[12:13]
	v_add_f64 v[74:75], v[44:45], v[8:9]
	v_add_f64 v[44:45], v[74:75], -v[44:45]
	s_mov_b32 s22, s6
	v_add_f64 v[8:9], v[8:9], -v[44:45]
	v_mul_f64 v[44:45], v[74:75], s[22:23]
	v_fma_f64 v[76:77], v[74:75], s[22:23], -v[44:45]
	s_mov_b32 s27, s25
	v_fmac_f64_e32 v[76:77], s[26:27], v[74:75]
	v_fmac_f64_e32 v[76:77], s[22:23], v[8:9]
	v_add_f64 v[8:9], v[44:45], v[76:77]
	v_add_f64 v[44:45], v[8:9], -v[44:45]
	v_addc_co_u32_e64 v3, s[0:1], 0, v3, vcc
	v_add_f64 v[44:45], v[76:77], -v[44:45]
.LBB0_22:                               ;   in Loop: Header=BB0_9 Depth=1
	s_andn2_saveexec_b64 s[0:1], s[42:43]
	s_cbranch_execz .LBB0_24
; %bb.23:                               ;   in Loop: Header=BB0_9 Depth=1
	v_mul_f64 v[8:9], |v[4:5]|, s[28:29]
	v_rndne_f64_e32 v[74:75], v[8:9]
	s_mov_b32 s30, s6
	v_fma_f64 v[8:9], v[74:75], s[30:31], |v[4:5]|
	v_mul_f64 v[76:77], v[74:75], s[34:35]
	v_add_f64 v[80:81], v[8:9], v[76:77]
	v_fma_f64 v[44:45], s[34:35], v[74:75], v[8:9]
	s_mov_b32 s24, s34
	v_add_f64 v[8:9], v[8:9], -v[80:81]
	v_fma_f64 v[78:79], s[24:25], v[74:75], v[76:77]
	v_add_f64 v[8:9], v[8:9], v[76:77]
	v_add_f64 v[76:77], v[80:81], -v[44:45]
	v_add_f64 v[8:9], v[76:77], v[8:9]
	v_add_f64 v[76:77], v[8:9], -v[78:79]
	v_fmac_f64_e32 v[76:77], s[36:37], v[74:75]
	v_add_f64 v[8:9], v[44:45], v[76:77]
	v_add_f64 v[44:45], v[8:9], -v[44:45]
	v_add_f64 v[44:45], v[76:77], -v[44:45]
	v_cvt_i32_f64_e32 v3, v[74:75]
.LBB0_24:                               ;   in Loop: Header=BB0_9 Depth=1
	s_or_b64 exec, exec, s[0:1]
	v_mul_f64 v[76:77], v[8:9], v[8:9]
	v_fma_f64 v[78:79], v[8:9], v[8:9], -v[76:77]
	v_add_f64 v[80:81], v[44:45], v[44:45]
	v_fmac_f64_e32 v[78:79], v[8:9], v[80:81]
	v_add_f64 v[76:77], v[76:77], v[78:79]
	v_pk_mov_b32 v[78:79], v[16:17], v[16:17] op_sel:[0,1]
	v_fmac_f64_e32 v[78:79], s[38:39], v[76:77]
	v_pk_mov_b32 v[80:81], v[18:19], v[18:19] op_sel:[0,1]
	v_fmac_f64_e32 v[80:81], v[76:77], v[78:79]
	;; [unrolled: 2-line block ×13, first 2 shown]
	v_mul_f64 v[76:77], v[76:77], v[78:79]
	v_mul_f64 v[78:79], v[8:9], v[76:77]
	v_add_f64 v[80:81], v[8:9], v[78:79]
	v_fma_f64 v[76:77], v[8:9], v[76:77], -v[78:79]
	v_add_f64 v[8:9], v[80:81], -v[8:9]
	v_add_f64 v[8:9], v[78:79], -v[8:9]
	v_add_f64 v[44:45], v[44:45], v[76:77]
	v_add_f64 v[8:9], v[44:45], v[8:9]
	;; [unrolled: 1-line block ×3, first 2 shown]
	v_rcp_f64_e32 v[76:77], v[44:45]
	v_add_f64 v[78:79], v[44:45], -v[80:81]
	v_add_f64 v[8:9], v[8:9], -v[78:79]
	v_add_u32_e32 v13, s51, v67
	v_fma_f64 v[78:79], -v[44:45], v[76:77], 1.0
	v_fmac_f64_e32 v[76:77], v[78:79], v[76:77]
	v_fma_f64 v[78:79], -v[44:45], v[76:77], 1.0
	v_fmac_f64_e32 v[76:77], v[78:79], v[76:77]
	v_mul_f64 v[78:79], v[44:45], v[76:77]
	v_fma_f64 v[80:81], v[76:77], v[44:45], -v[78:79]
	v_fmac_f64_e32 v[80:81], v[76:77], v[8:9]
	v_add_f64 v[8:9], v[78:79], v[80:81]
	v_add_f64 v[82:83], -v[8:9], 1.0
	v_add_f64 v[78:79], v[8:9], -v[78:79]
	v_add_f64 v[84:85], -v[82:83], 1.0
	v_add_f64 v[8:9], v[84:85], -v[8:9]
	v_add_f64 v[78:79], v[78:79], -v[80:81]
	v_add_f64 v[8:9], v[78:79], v[8:9]
	v_add_f64 v[8:9], v[82:83], v[8:9]
	v_ashrrev_i32_e32 v43, 31, v13
	v_mov_b32_e32 v75, s11
	v_add_co_u32_e32 v74, vcc, s10, v13
	v_mul_f64 v[8:9], v[76:77], v[8:9]
	v_addc_co_u32_e32 v75, vcc, v75, v43, vcc
	v_and_b32_e32 v3, 1, v3
	v_add_f64 v[8:9], v[76:77], v[8:9]
	v_xor_b32_e32 v9, 0x80000000, v9
	v_cmp_eq_u32_e32 vcc, 0, v3
	v_cndmask_b32_e32 v3, v8, v44, vcc
	v_cndmask_b32_e32 v8, v9, v45, vcc
	v_and_b32_e32 v9, 0x80000000, v5
	v_xor_b32_e32 v8, v8, v9
	v_cmp_class_f64_e64 vcc, v[4:5], s50
	v_cndmask_b32_e32 v4, 0, v3, vcc
	v_cndmask_b32_e32 v5, v71, v8, vcc
	v_pk_mov_b32 v[8:9], s[12:13], s[12:13] op_sel:[0,1]
	v_fma_f64 v[4:5], s[14:15], v[4:5], v[8:9]
	global_store_dwordx2 v[74:75], v[4:5], off
.LBB0_25:                               ;   in Loop: Header=BB0_9 Depth=1
	s_or_b64 exec, exec, s[40:41]
	v_mov_b32_e32 v3, s45
	v_add_co_u32_e32 v4, vcc, s33, v14
	v_addc_co_u32_e32 v5, vcc, v3, v15, vcc
	v_cmp_gt_i64_e32 vcc, s[8:9], v[4:5]
	s_and_saveexec_b64 s[40:41], vcc
	s_cbranch_execz .LBB0_8
; %bb.26:                               ;   in Loop: Header=BB0_9 Depth=1
	v_lshrrev_b32_e32 v3, 11, v7
	v_cvt_f64_u32_e32 v[4:5], v3
	v_ldexp_f64 v[4:5], v[4:5], 32
	v_cvt_f64_u32_e32 v[6:7], v6
	v_add_f64 v[4:5], v[4:5], v[6:7]
	v_mov_b32_e32 v6, 0
	v_mov_b32_e32 v7, 0x3ca00000
	v_fmac_f64_e32 v[6:7], 0x3ca00000, v[4:5]
	v_add_f64 v[4:5], v[6:7], -0.5
	v_mul_f64 v[4:5], v[4:5], s[6:7]
	v_cmp_nlt_f64_e64 s[0:1], |v[4:5]|, s[16:17]
                                        ; implicit-def: $vgpr3
                                        ; implicit-def: $vgpr6_vgpr7
                                        ; implicit-def: $vgpr8_vgpr9
	s_and_saveexec_b64 s[42:43], s[0:1]
	s_xor_b64 s[42:43], exec, s[42:43]
	s_cbranch_execz .LBB0_28
; %bb.27:                               ;   in Loop: Header=BB0_9 Depth=1
	v_and_b32_e32 v3, 0x7fffffff, v5
	v_ldexp_f64 v[44:45], |v[4:5]|, s49
	v_cmp_ge_f64_e64 vcc, |v[4:5]|, s[18:19]
	v_trig_preop_f64 v[6:7], |v[4:5]|, 0
	v_cndmask_b32_e32 v45, v3, v45, vcc
	v_cndmask_b32_e32 v44, v4, v44, vcc
	v_trig_preop_f64 v[8:9], |v[4:5]|, 1
	v_mul_f64 v[76:77], v[6:7], v[44:45]
	v_mul_f64 v[74:75], v[8:9], v[44:45]
	v_fma_f64 v[6:7], v[6:7], v[44:45], -v[76:77]
	v_add_f64 v[78:79], v[74:75], v[6:7]
	v_add_f64 v[80:81], v[76:77], v[78:79]
	v_ldexp_f64 v[82:83], v[80:81], -2
	v_fract_f64_e32 v[84:85], v[82:83]
	v_cmp_neq_f64_e64 vcc, |v[82:83]|, s[20:21]
	v_cndmask_b32_e32 v83, 0, v85, vcc
	v_cndmask_b32_e32 v82, 0, v84, vcc
	v_add_f64 v[84:85], v[78:79], -v[74:75]
	v_add_f64 v[6:7], v[6:7], -v[84:85]
	;; [unrolled: 1-line block ×4, first 2 shown]
	v_fma_f64 v[8:9], v[8:9], v[44:45], -v[74:75]
	v_trig_preop_f64 v[74:75], |v[4:5]|, 2
	v_add_f64 v[6:7], v[6:7], v[84:85]
	v_mul_f64 v[84:85], v[74:75], v[44:45]
	v_add_f64 v[86:87], v[84:85], v[8:9]
	v_add_f64 v[88:89], v[86:87], v[6:7]
	v_add_f64 v[76:77], v[80:81], -v[76:77]
	v_add_f64 v[80:81], v[88:89], -v[86:87]
	v_add_f64 v[6:7], v[6:7], -v[80:81]
	v_add_f64 v[80:81], v[88:89], -v[80:81]
	v_add_f64 v[80:81], v[86:87], -v[80:81]
	v_add_f64 v[6:7], v[6:7], v[80:81]
	v_add_f64 v[80:81], v[86:87], -v[84:85]
	v_add_f64 v[8:9], v[8:9], -v[80:81]
	;; [unrolled: 1-line block ×4, first 2 shown]
	v_add_f64 v[8:9], v[8:9], v[80:81]
	v_add_f64 v[76:77], v[78:79], -v[76:77]
	v_add_f64 v[6:7], v[8:9], v[6:7]
	v_fma_f64 v[8:9], v[74:75], v[44:45], -v[84:85]
	v_add_f64 v[78:79], v[76:77], v[88:89]
	v_add_f64 v[6:7], v[8:9], v[6:7]
	v_ldexp_f64 v[8:9], v[82:83], 2
	v_add_f64 v[44:45], v[78:79], v[8:9]
	v_cmp_gt_f64_e32 vcc, 0, v[44:45]
	v_cndmask_b32_e32 v13, 0, v69, vcc
	v_add_f64 v[8:9], v[8:9], v[12:13]
	v_add_f64 v[44:45], v[78:79], v[8:9]
	v_cvt_i32_f64_e32 v3, v[44:45]
	v_cvt_f64_i32_e32 v[44:45], v3
	v_add_f64 v[8:9], v[8:9], -v[44:45]
	v_add_f64 v[76:77], v[78:79], -v[76:77]
	v_add_f64 v[44:45], v[78:79], v[8:9]
	v_add_f64 v[76:77], v[88:89], -v[76:77]
	v_add_f64 v[8:9], v[44:45], -v[8:9]
	v_cmp_le_f64_e32 vcc, 0.5, v[44:45]
	v_add_f64 v[6:7], v[76:77], v[6:7]
	v_add_f64 v[8:9], v[78:79], -v[8:9]
	v_cndmask_b32_e32 v13, 0, v70, vcc
	v_add_f64 v[6:7], v[6:7], v[8:9]
	v_add_f64 v[8:9], v[44:45], -v[12:13]
	v_add_f64 v[44:45], v[8:9], v[6:7]
	v_add_f64 v[8:9], v[44:45], -v[8:9]
	s_mov_b32 s22, s6
	v_add_f64 v[6:7], v[6:7], -v[8:9]
	v_mul_f64 v[8:9], v[44:45], s[22:23]
	v_fma_f64 v[74:75], v[44:45], s[22:23], -v[8:9]
	s_mov_b32 s27, s25
	v_fmac_f64_e32 v[74:75], s[26:27], v[44:45]
	v_fmac_f64_e32 v[74:75], s[22:23], v[6:7]
	v_add_f64 v[6:7], v[8:9], v[74:75]
	v_add_f64 v[8:9], v[6:7], -v[8:9]
	v_addc_co_u32_e64 v3, s[0:1], 0, v3, vcc
	v_add_f64 v[8:9], v[74:75], -v[8:9]
.LBB0_28:                               ;   in Loop: Header=BB0_9 Depth=1
	s_andn2_saveexec_b64 s[0:1], s[42:43]
	s_cbranch_execz .LBB0_7
; %bb.29:                               ;   in Loop: Header=BB0_9 Depth=1
	v_mul_f64 v[6:7], |v[4:5]|, s[28:29]
	v_rndne_f64_e32 v[44:45], v[6:7]
	s_mov_b32 s30, s6
	v_fma_f64 v[6:7], v[44:45], s[30:31], |v[4:5]|
	v_mul_f64 v[74:75], v[44:45], s[34:35]
	v_add_f64 v[78:79], v[6:7], v[74:75]
	v_fma_f64 v[8:9], s[34:35], v[44:45], v[6:7]
	s_mov_b32 s24, s34
	v_add_f64 v[6:7], v[6:7], -v[78:79]
	v_fma_f64 v[76:77], s[24:25], v[44:45], v[74:75]
	v_add_f64 v[6:7], v[6:7], v[74:75]
	v_add_f64 v[74:75], v[78:79], -v[8:9]
	v_add_f64 v[6:7], v[74:75], v[6:7]
	v_add_f64 v[74:75], v[6:7], -v[76:77]
	v_fmac_f64_e32 v[74:75], s[36:37], v[44:45]
	v_add_f64 v[6:7], v[8:9], v[74:75]
	v_add_f64 v[8:9], v[6:7], -v[8:9]
	v_add_f64 v[8:9], v[74:75], -v[8:9]
	v_cvt_i32_f64_e32 v3, v[44:45]
	s_branch .LBB0_7
.LBB0_30:
	s_endpgm
.LBB0_31:
                                        ; implicit-def: $sgpr2_sgpr3
	s_andn2_b64 vcc, exec, s[0:1]
	s_cbranch_vccz .LBB0_4
	s_branch .LBB0_5
	.section	.rodata,"a",@progbits
	.p2align	6, 0x0
	.amdhsa_kernel _ZN2at6native12_GLOBAL__N_143distribution_elementwise_grid_stride_kernelIdLi2EZNS0_9templates4cuda21uniform_and_transformIddPNS_17CUDAGeneratorImplEZZZNS4_13cauchy_kernelIS7_EEvRNS_18TensorIteratorBaseEddT_ENKUlvE_clEvENKUlvE_clEvEUldE_EEvSA_T1_T2_EUlP25hiprandStatePhilox4_32_10E_ZNS1_27distribution_nullary_kernelIdd15HIP_vector_typeIdLj2EES7_SJ_SE_EEvSA_SG_RKT3_T4_EUlidE_EEvlNS_15PhiloxCudaStateESF_SG_
		.amdhsa_group_segment_fixed_size 0
		.amdhsa_private_segment_fixed_size 0
		.amdhsa_kernarg_size 336
		.amdhsa_user_sgpr_count 6
		.amdhsa_user_sgpr_private_segment_buffer 1
		.amdhsa_user_sgpr_dispatch_ptr 0
		.amdhsa_user_sgpr_queue_ptr 0
		.amdhsa_user_sgpr_kernarg_segment_ptr 1
		.amdhsa_user_sgpr_dispatch_id 0
		.amdhsa_user_sgpr_flat_scratch_init 0
		.amdhsa_user_sgpr_kernarg_preload_length 0
		.amdhsa_user_sgpr_kernarg_preload_offset 0
		.amdhsa_user_sgpr_private_segment_size 0
		.amdhsa_uses_dynamic_stack 0
		.amdhsa_system_sgpr_private_segment_wavefront_offset 0
		.amdhsa_system_sgpr_workgroup_id_x 1
		.amdhsa_system_sgpr_workgroup_id_y 0
		.amdhsa_system_sgpr_workgroup_id_z 0
		.amdhsa_system_sgpr_workgroup_info 0
		.amdhsa_system_vgpr_workitem_id 0
		.amdhsa_next_free_vgpr 92
		.amdhsa_next_free_sgpr 52
		.amdhsa_accum_offset 92
		.amdhsa_reserve_vcc 1
		.amdhsa_reserve_flat_scratch 0
		.amdhsa_float_round_mode_32 0
		.amdhsa_float_round_mode_16_64 0
		.amdhsa_float_denorm_mode_32 3
		.amdhsa_float_denorm_mode_16_64 3
		.amdhsa_dx10_clamp 1
		.amdhsa_ieee_mode 1
		.amdhsa_fp16_overflow 0
		.amdhsa_tg_split 0
		.amdhsa_exception_fp_ieee_invalid_op 0
		.amdhsa_exception_fp_denorm_src 0
		.amdhsa_exception_fp_ieee_div_zero 0
		.amdhsa_exception_fp_ieee_overflow 0
		.amdhsa_exception_fp_ieee_underflow 0
		.amdhsa_exception_fp_ieee_inexact 0
		.amdhsa_exception_int_div_zero 0
	.end_amdhsa_kernel
	.section	.text._ZN2at6native12_GLOBAL__N_143distribution_elementwise_grid_stride_kernelIdLi2EZNS0_9templates4cuda21uniform_and_transformIddPNS_17CUDAGeneratorImplEZZZNS4_13cauchy_kernelIS7_EEvRNS_18TensorIteratorBaseEddT_ENKUlvE_clEvENKUlvE_clEvEUldE_EEvSA_T1_T2_EUlP25hiprandStatePhilox4_32_10E_ZNS1_27distribution_nullary_kernelIdd15HIP_vector_typeIdLj2EES7_SJ_SE_EEvSA_SG_RKT3_T4_EUlidE_EEvlNS_15PhiloxCudaStateESF_SG_,"axG",@progbits,_ZN2at6native12_GLOBAL__N_143distribution_elementwise_grid_stride_kernelIdLi2EZNS0_9templates4cuda21uniform_and_transformIddPNS_17CUDAGeneratorImplEZZZNS4_13cauchy_kernelIS7_EEvRNS_18TensorIteratorBaseEddT_ENKUlvE_clEvENKUlvE_clEvEUldE_EEvSA_T1_T2_EUlP25hiprandStatePhilox4_32_10E_ZNS1_27distribution_nullary_kernelIdd15HIP_vector_typeIdLj2EES7_SJ_SE_EEvSA_SG_RKT3_T4_EUlidE_EEvlNS_15PhiloxCudaStateESF_SG_,comdat
.Lfunc_end0:
	.size	_ZN2at6native12_GLOBAL__N_143distribution_elementwise_grid_stride_kernelIdLi2EZNS0_9templates4cuda21uniform_and_transformIddPNS_17CUDAGeneratorImplEZZZNS4_13cauchy_kernelIS7_EEvRNS_18TensorIteratorBaseEddT_ENKUlvE_clEvENKUlvE_clEvEUldE_EEvSA_T1_T2_EUlP25hiprandStatePhilox4_32_10E_ZNS1_27distribution_nullary_kernelIdd15HIP_vector_typeIdLj2EES7_SJ_SE_EEvSA_SG_RKT3_T4_EUlidE_EEvlNS_15PhiloxCudaStateESF_SG_, .Lfunc_end0-_ZN2at6native12_GLOBAL__N_143distribution_elementwise_grid_stride_kernelIdLi2EZNS0_9templates4cuda21uniform_and_transformIddPNS_17CUDAGeneratorImplEZZZNS4_13cauchy_kernelIS7_EEvRNS_18TensorIteratorBaseEddT_ENKUlvE_clEvENKUlvE_clEvEUldE_EEvSA_T1_T2_EUlP25hiprandStatePhilox4_32_10E_ZNS1_27distribution_nullary_kernelIdd15HIP_vector_typeIdLj2EES7_SJ_SE_EEvSA_SG_RKT3_T4_EUlidE_EEvlNS_15PhiloxCudaStateESF_SG_
                                        ; -- End function
	.section	.AMDGPU.csdata,"",@progbits
; Kernel info:
; codeLenInByte = 5052
; NumSgprs: 56
; NumVgprs: 92
; NumAgprs: 0
; TotalNumVgprs: 92
; ScratchSize: 0
; MemoryBound: 0
; FloatMode: 240
; IeeeMode: 1
; LDSByteSize: 0 bytes/workgroup (compile time only)
; SGPRBlocks: 6
; VGPRBlocks: 11
; NumSGPRsForWavesPerEU: 56
; NumVGPRsForWavesPerEU: 92
; AccumOffset: 92
; Occupancy: 5
; WaveLimiterHint : 0
; COMPUTE_PGM_RSRC2:SCRATCH_EN: 0
; COMPUTE_PGM_RSRC2:USER_SGPR: 6
; COMPUTE_PGM_RSRC2:TRAP_HANDLER: 0
; COMPUTE_PGM_RSRC2:TGID_X_EN: 1
; COMPUTE_PGM_RSRC2:TGID_Y_EN: 0
; COMPUTE_PGM_RSRC2:TGID_Z_EN: 0
; COMPUTE_PGM_RSRC2:TIDIG_COMP_CNT: 0
; COMPUTE_PGM_RSRC3_GFX90A:ACCUM_OFFSET: 22
; COMPUTE_PGM_RSRC3_GFX90A:TG_SPLIT: 0
	.section	.text._ZN2at6native12_GLOBAL__N_143distribution_elementwise_grid_stride_kernelIdLi2EZNS0_9templates4cuda21uniform_and_transformIddPNS_17CUDAGeneratorImplEZZZNS4_13cauchy_kernelIS7_EEvRNS_18TensorIteratorBaseEddT_ENKUlvE_clEvENKUlvE_clEvEUldE_EEvSA_T1_T2_EUlP25hiprandStatePhilox4_32_10E_ZNS1_27distribution_nullary_kernelIdd15HIP_vector_typeIdLj2EES7_SJ_SE_EEvSA_SG_RKT3_T4_EUlidE0_EEvlNS_15PhiloxCudaStateESF_SG_,"axG",@progbits,_ZN2at6native12_GLOBAL__N_143distribution_elementwise_grid_stride_kernelIdLi2EZNS0_9templates4cuda21uniform_and_transformIddPNS_17CUDAGeneratorImplEZZZNS4_13cauchy_kernelIS7_EEvRNS_18TensorIteratorBaseEddT_ENKUlvE_clEvENKUlvE_clEvEUldE_EEvSA_T1_T2_EUlP25hiprandStatePhilox4_32_10E_ZNS1_27distribution_nullary_kernelIdd15HIP_vector_typeIdLj2EES7_SJ_SE_EEvSA_SG_RKT3_T4_EUlidE0_EEvlNS_15PhiloxCudaStateESF_SG_,comdat
	.globl	_ZN2at6native12_GLOBAL__N_143distribution_elementwise_grid_stride_kernelIdLi2EZNS0_9templates4cuda21uniform_and_transformIddPNS_17CUDAGeneratorImplEZZZNS4_13cauchy_kernelIS7_EEvRNS_18TensorIteratorBaseEddT_ENKUlvE_clEvENKUlvE_clEvEUldE_EEvSA_T1_T2_EUlP25hiprandStatePhilox4_32_10E_ZNS1_27distribution_nullary_kernelIdd15HIP_vector_typeIdLj2EES7_SJ_SE_EEvSA_SG_RKT3_T4_EUlidE0_EEvlNS_15PhiloxCudaStateESF_SG_ ; -- Begin function _ZN2at6native12_GLOBAL__N_143distribution_elementwise_grid_stride_kernelIdLi2EZNS0_9templates4cuda21uniform_and_transformIddPNS_17CUDAGeneratorImplEZZZNS4_13cauchy_kernelIS7_EEvRNS_18TensorIteratorBaseEddT_ENKUlvE_clEvENKUlvE_clEvEUldE_EEvSA_T1_T2_EUlP25hiprandStatePhilox4_32_10E_ZNS1_27distribution_nullary_kernelIdd15HIP_vector_typeIdLj2EES7_SJ_SE_EEvSA_SG_RKT3_T4_EUlidE0_EEvlNS_15PhiloxCudaStateESF_SG_
	.p2align	8
	.type	_ZN2at6native12_GLOBAL__N_143distribution_elementwise_grid_stride_kernelIdLi2EZNS0_9templates4cuda21uniform_and_transformIddPNS_17CUDAGeneratorImplEZZZNS4_13cauchy_kernelIS7_EEvRNS_18TensorIteratorBaseEddT_ENKUlvE_clEvENKUlvE_clEvEUldE_EEvSA_T1_T2_EUlP25hiprandStatePhilox4_32_10E_ZNS1_27distribution_nullary_kernelIdd15HIP_vector_typeIdLj2EES7_SJ_SE_EEvSA_SG_RKT3_T4_EUlidE0_EEvlNS_15PhiloxCudaStateESF_SG_,@function
_ZN2at6native12_GLOBAL__N_143distribution_elementwise_grid_stride_kernelIdLi2EZNS0_9templates4cuda21uniform_and_transformIddPNS_17CUDAGeneratorImplEZZZNS4_13cauchy_kernelIS7_EEvRNS_18TensorIteratorBaseEddT_ENKUlvE_clEvENKUlvE_clEvEUldE_EEvSA_T1_T2_EUlP25hiprandStatePhilox4_32_10E_ZNS1_27distribution_nullary_kernelIdd15HIP_vector_typeIdLj2EES7_SJ_SE_EEvSA_SG_RKT3_T4_EUlidE0_EEvlNS_15PhiloxCudaStateESF_SG_: ; @_ZN2at6native12_GLOBAL__N_143distribution_elementwise_grid_stride_kernelIdLi2EZNS0_9templates4cuda21uniform_and_transformIddPNS_17CUDAGeneratorImplEZZZNS4_13cauchy_kernelIS7_EEvRNS_18TensorIteratorBaseEddT_ENKUlvE_clEvENKUlvE_clEvEUldE_EEvSA_T1_T2_EUlP25hiprandStatePhilox4_32_10E_ZNS1_27distribution_nullary_kernelIdd15HIP_vector_typeIdLj2EES7_SJ_SE_EEvSA_SG_RKT3_T4_EUlidE0_EEvlNS_15PhiloxCudaStateESF_SG_
; %bb.0:
	s_load_dword s2, s[4:5], 0x20
	s_load_dwordx2 s[0:1], s[4:5], 0x10
	s_load_dwordx4 s[24:27], s[4:5], 0x0
	s_waitcnt lgkmcnt(0)
	s_bitcmp0_b32 s2, 0
	s_mov_b32 s2, 0
	v_pk_mov_b32 v[2:3], s[0:1], s[0:1] op_sel:[0,1]
	v_pk_mov_b32 v[10:11], s[26:27], s[26:27] op_sel:[0,1]
	s_cbranch_scc1 .LBB1_2
; %bb.1:
	v_pk_mov_b32 v[2:3], s[0:1], s[0:1] op_sel:[0,1]
	flat_load_dwordx2 v[2:3], v[2:3]
	v_pk_mov_b32 v[4:5], s[26:27], s[26:27] op_sel:[0,1]
	flat_load_dwordx2 v[10:11], v[4:5]
	s_load_dwordx2 s[0:1], s[4:5], 0x18
	s_waitcnt lgkmcnt(0)
	v_mov_b32_e32 v1, s1
	s_waitcnt vmcnt(0)
	v_add_co_u32_e32 v2, vcc, s0, v2
	v_addc_co_u32_e32 v3, vcc, v3, v1, vcc
.LBB1_2:
	s_load_dword s0, s[4:5], 0x15c
	s_load_dword s7, s[4:5], 0x150
	s_waitcnt lgkmcnt(0)
	s_and_b32 s8, s0, 0xffff
	s_add_u32 s9, s24, -1
	s_mul_i32 s33, s7, s8
	s_addc_u32 s3, s25, -1
	s_lshl_b32 s86, s33, 1
	s_cmp_lg_u64 s[2:3], 0
	s_mov_b64 s[0:1], -1
	s_cbranch_scc0 .LBB1_59
; %bb.3:
	v_cvt_f32_u32_e32 v1, s86
	v_cvt_f32_ubyte0_e32 v4, 0
	s_sub_u32 s2, 0, s86
	s_subb_u32 s10, 0, 0
	v_madmk_f32 v1, v4, 0x4f800000, v1
	v_rcp_f32_e32 v1, v1
	v_mul_f32_e32 v1, 0x5f7ffffc, v1
	v_mul_f32_e32 v4, 0x2f800000, v1
	v_trunc_f32_e32 v4, v4
	v_madmk_f32 v1, v4, 0xcf800000, v1
	v_cvt_u32_f32_e32 v4, v4
	v_cvt_u32_f32_e32 v1, v1
	v_readfirstlane_b32 s11, v4
	v_readfirstlane_b32 s12, v1
	s_mul_i32 s13, s2, s11
	s_mul_hi_u32 s15, s2, s12
	s_mul_i32 s14, s10, s12
	s_add_i32 s13, s15, s13
	s_add_i32 s13, s13, s14
	s_mul_i32 s16, s2, s12
	s_mul_hi_u32 s14, s12, s13
	s_mul_i32 s15, s12, s13
	s_mul_hi_u32 s12, s12, s16
	s_add_u32 s12, s12, s15
	s_addc_u32 s14, 0, s14
	s_mul_hi_u32 s17, s11, s16
	s_mul_i32 s16, s11, s16
	s_add_u32 s12, s12, s16
	s_mul_hi_u32 s15, s11, s13
	s_addc_u32 s12, s14, s17
	s_addc_u32 s14, s15, 0
	s_mul_i32 s13, s11, s13
	s_add_u32 s12, s12, s13
	s_addc_u32 s13, 0, s14
	v_add_co_u32_e32 v1, vcc, s12, v1
	s_cmp_lg_u64 vcc, 0
	s_addc_u32 s11, s11, s13
	v_readfirstlane_b32 s13, v1
	s_mul_i32 s12, s2, s11
	s_mul_hi_u32 s14, s2, s13
	s_add_i32 s12, s14, s12
	s_mul_i32 s10, s10, s13
	s_add_i32 s12, s12, s10
	s_mul_i32 s2, s2, s13
	s_mul_hi_u32 s14, s11, s2
	s_mul_i32 s15, s11, s2
	s_mul_i32 s17, s13, s12
	s_mul_hi_u32 s2, s13, s2
	s_mul_hi_u32 s16, s13, s12
	s_add_u32 s2, s2, s17
	s_addc_u32 s13, 0, s16
	s_add_u32 s2, s2, s15
	s_mul_hi_u32 s10, s11, s12
	s_addc_u32 s2, s13, s14
	s_addc_u32 s10, s10, 0
	s_mul_i32 s12, s11, s12
	s_add_u32 s2, s2, s12
	s_addc_u32 s10, 0, s10
	v_add_co_u32_e32 v1, vcc, s2, v1
	s_cmp_lg_u64 vcc, 0
	s_addc_u32 s12, s11, s10
	s_ashr_i32 s10, s3, 31
	s_add_u32 s2, s9, s10
	s_mov_b32 s11, s10
	s_addc_u32 s3, s3, s10
	s_xor_b64 s[2:3], s[2:3], s[10:11]
	v_readfirstlane_b32 s15, v1
	s_mul_i32 s14, s2, s12
	s_mul_hi_u32 s16, s2, s15
	s_mul_hi_u32 s13, s2, s12
	s_add_u32 s14, s16, s14
	s_addc_u32 s13, 0, s13
	s_mul_hi_u32 s17, s3, s15
	s_mul_i32 s15, s3, s15
	s_add_u32 s14, s14, s15
	s_mul_hi_u32 s16, s3, s12
	s_addc_u32 s13, s13, s17
	s_addc_u32 s14, s16, 0
	s_mul_i32 s12, s3, s12
	s_add_u32 s12, s13, s12
	s_addc_u32 s13, 0, s14
	s_add_u32 s14, s12, 1
	s_addc_u32 s15, s13, 0
	s_add_u32 s16, s12, 2
	s_mul_i32 s18, s86, s13
	s_mul_hi_u32 s19, s86, s12
	s_addc_u32 s17, s13, 0
	s_add_i32 s19, s19, s18
	s_mul_i32 s18, s86, s12
	v_mov_b32_e32 v1, s18
	v_sub_co_u32_e32 v1, vcc, s2, v1
	s_cmp_lg_u64 vcc, 0
	s_subb_u32 s2, s3, s19
	v_subrev_co_u32_e32 v4, vcc, s86, v1
	s_cmp_lg_u64 vcc, 0
	s_subb_u32 s3, s2, 0
	v_readfirstlane_b32 s18, v4
	s_cmp_ge_u32 s18, s86
	s_cselect_b32 s18, -1, 0
	s_cmp_eq_u32 s3, 0
	s_cselect_b32 s3, s18, -1
	s_cmp_lg_u32 s3, 0
	s_cselect_b32 s3, s17, s15
	v_readfirstlane_b32 s15, v1
	s_cselect_b32 s14, s16, s14
	s_cmp_ge_u32 s15, s86
	s_cselect_b32 s15, -1, 0
	s_cmp_eq_u32 s2, 0
	s_cselect_b32 s2, s15, -1
	s_cmp_lg_u32 s2, 0
	s_cselect_b32 s3, s3, s13
	s_cselect_b32 s2, s14, s12
	s_xor_b64 s[2:3], s[2:3], s[10:11]
	s_sub_u32 s2, s2, s10
	s_subb_u32 s3, s3, s10
	s_cbranch_execnz .LBB1_5
.LBB1_4:
	v_cvt_f32_u32_e32 v1, s86
	s_sub_i32 s0, 0, s86
	s_mov_b32 s3, 0
	v_rcp_iflag_f32_e32 v1, v1
	v_mul_f32_e32 v1, 0x4f7ffffe, v1
	v_cvt_u32_f32_e32 v1, v1
	v_readfirstlane_b32 s1, v1
	s_mul_i32 s0, s0, s1
	s_mul_hi_u32 s0, s1, s0
	s_add_i32 s1, s1, s0
	s_mul_hi_u32 s0, s9, s1
	s_mul_i32 s2, s0, s86
	s_sub_i32 s2, s9, s2
	s_add_i32 s1, s0, 1
	s_sub_i32 s9, s2, s86
	s_cmp_ge_u32 s2, s86
	s_cselect_b32 s0, s1, s0
	s_cselect_b32 s2, s9, s2
	s_add_i32 s1, s0, 1
	s_cmp_ge_u32 s2, s86
	s_cselect_b32 s2, s1, s0
.LBB1_5:
	v_mov_b32_e32 v12, 0
	v_mov_b32_e32 v1, v12
	;; [unrolled: 1-line block ×3, first 2 shown]
	v_mad_u64_u32 v[14:15], s[0:1], s8, v4, v[0:1]
	s_add_u32 s0, s2, 1
	s_addc_u32 s1, s3, 0
	s_mul_hi_u32 s2, s7, s8
	s_mul_i32 s1, s33, s1
	s_mul_hi_u32 s3, s33, s0
	s_add_i32 s1, s3, s1
	s_mul_i32 s2, s2, s0
	s_add_i32 s1, s1, s2
	s_mul_i32 s0, s33, s0
	s_lshl_b64 s[26:27], s[0:1], 1
	v_cmp_gt_i64_e32 vcc, s[26:27], v[14:15]
	s_and_saveexec_b64 s[0:1], vcc
	s_cbranch_execz .LBB1_58
; %bb.6:
	s_mov_b32 s0, 0x5384540f
	v_mov_b32_e32 v0, v11
	v_add_co_u32_e32 v52, vcc, s0, v10
	s_mov_b32 s0, 0x646e171e
	v_add_co_u32_e32 v53, vcc, s0, v0
	s_mov_b32 s0, 0x1715609d
	;; [unrolled: 2-line block ×6, first 2 shown]
	v_alignbit_b32 v59, v3, v2, 2
	s_mov_b32 s88, 0xd2511f53
	v_add_co_u32_e32 v58, vcc, s0, v10
	v_mad_u64_u32 v[4:5], s[0:1], v59, s88, 0
	v_xor_b32_e32 v1, v5, v11
	v_xor_b32_e32 v1, v1, v15
	s_mov_b32 s89, 0xcd9e8d57
	v_mad_u64_u32 v[6:7], s[0:1], v1, s89, 0
	v_xor_b32_e32 v1, v58, v7
	v_mad_u64_u32 v[8:9], s[0:1], v14, s89, 0
	v_and_b32_e32 v48, 3, v2
	v_xor_b32_e32 v1, v1, v8
	v_xor_b32_e32 v2, v10, v9
	v_lshrrev_b32_e32 v60, 2, v3
	v_mad_u64_u32 v[16:17], s[0:1], v1, s88, 0
	v_xor_b32_e32 v2, v2, v60
	v_xor_b32_e32 v1, v57, v17
	v_mad_u64_u32 v[2:3], s[0:1], v2, s88, 0
	v_xor_b32_e32 v1, v1, v2
	v_mad_u64_u32 v[8:9], s[0:1], v1, s89, 0
	s_mov_b32 s0, 0xbb67ae85
	v_add_co_u32_e32 v61, vcc, s0, v0
	v_xor_b32_e32 v2, v61, v3
	v_xor_b32_e32 v2, v2, v4
	v_xor_b32_e32 v1, v56, v9
	v_mad_u64_u32 v[2:3], s[0:1], v2, s89, 0
	v_xor_b32_e32 v1, v1, v2
	v_mad_u64_u32 v[4:5], s[0:1], v1, s88, 0
	s_mov_b32 s0, 0x3c6ef372
	v_add_co_u32_e32 v62, vcc, s0, v10
	v_xor_b32_e32 v2, v62, v3
	;; [unrolled: 8-line block ×6, first 2 shown]
	v_add_co_u32_e32 v51, vcc, 0xdb3d7428, v0
	v_xor_b32_e32 v2, v2, v6
	v_xor_b32_e32 v1, v51, v19
	v_mad_u64_u32 v[2:3], s[0:1], v2, s88, 0
	v_xor_b32_e32 v1, v1, v2
	v_mad_u64_u32 v[20:21], s[0:1], v1, s89, 0
	s_mov_b32 s0, 0x1fd5c5a3
	v_add_co_u32_e32 v67, vcc, s0, v0
	v_xor_b32_e32 v0, v67, v3
	v_xor_b32_e32 v0, v0, v16
	v_mad_u64_u32 v[0:1], s[0:1], v0, s89, 0
	s_mov_b32 s0, 0xf1bbcdc8
	s_load_dwordx8 s[8:15], s[4:5], 0x30
	v_add_u32_e32 v49, 0x8ff34781, v10
	v_xor_b32_e32 v0, v21, v0
	v_add_co_u32_e32 v68, vcc, s0, v10
	v_xor_b32_e32 v4, v49, v0
	v_xor_b32_e32 v0, v68, v1
	;; [unrolled: 1-line block ×3, first 2 shown]
	s_add_u32 s34, s4, 48
	v_mad_u64_u32 v[0:1], s[0:1], v0, s88, 0
	s_addc_u32 s35, s5, 0
	s_waitcnt lgkmcnt(0)
	s_add_i32 s0, s8, -1
	s_cmp_gt_u32 s0, 1
	s_cselect_b64 s[40:41], -1, 0
	s_cmp_lg_u32 s8, 0
	s_cselect_b64 s[42:43], -1, 0
	s_add_u32 s44, s4, 0xf4
	s_addc_u32 s45, s5, 0
	s_min_u32 s1, s0, 15
	s_cmp_gt_u32 s8, 1
	s_cselect_b64 s[46:47], -1, 0
	s_load_dwordx2 s[48:49], s[4:5], 0x148
	s_load_dwordx2 s[50:51], s[4:5], 0xf4
	s_load_dwordx4 s[28:31], s[4:5], 0x138
	s_add_i32 s1, s1, 1
	s_mov_b32 s8, s13
	s_and_b32 s13, s1, 3
	s_cmp_lg_u32 s0, 2
	s_cselect_b64 s[52:53], -1, 0
	s_and_b32 s15, s1, 28
	v_add_u32_e32 v50, 0x96a522ad, v11
	v_xor_b32_e32 v1, v1, v18
	s_cmp_lg_u32 s13, 0
	s_mov_b32 s58, 0x54442d18
	s_mov_b32 s60, 0
	s_mov_b32 s62, 0
	s_mov_b32 s64, 0
	s_mov_b32 s72, 0x6dc9c883
	s_mov_b32 s76, 0x33145c00
	s_mov_b32 s78, 0x252049c0
	s_mov_b32 s80, 0xc751c08c
	s_mov_b32 s87, 0
	v_xor_b32_e32 v6, v50, v1
	v_mov_b32_e32 v5, v20
	v_mov_b32_e32 v7, v0
	s_mov_b64 s[54:55], 0
	s_cselect_b64 s[56:57], -1, 0
	s_mov_b32 s59, 0x400921fb
	s_mov_b32 s61, 0x41d00000
	;; [unrolled: 1-line block ×3, first 2 shown]
	s_movk_i32 s90, 0xff80
	s_mov_b32 s65, 0x7ff00000
	s_mov_b32 s67, 0x3ff921fb
	;; [unrolled: 1-line block ×9, first 2 shown]
	s_movk_i32 s91, 0x1f8
	v_mov_b32_e32 v69, 0x40100000
	v_mov_b32_e32 v70, 0x3ff00000
	v_mov_b32_e32 v16, 0xa9a29f71
	v_mov_b32_e32 v17, 0xbf078809
	v_mov_b32_e32 v18, 0x90a8aae0
	v_mov_b32_e32 v19, 0x3f17746f
	v_mov_b32_e32 v20, 0xa6fbf144
	v_mov_b32_e32 v21, 0xbefbb44d
	v_mov_b32_e32 v22, 0xa7943acf
	v_mov_b32_e32 v23, 0x3f21e634
	v_mov_b32_e32 v24, 0xdeb68feb
	v_mov_b32_e32 v25, 0x3f2d250f
	v_mov_b32_e32 v26, 0xb58c4d95
	v_mov_b32_e32 v27, 0x3f437fd9
	v_mov_b32_e32 v28, 0x15120e2c
	v_mov_b32_e32 v29, 0x3f57d5af
	v_mov_b32_e32 v30, 0xe09491df
	v_mov_b32_e32 v31, 0x3f6d6d93
	v_mov_b32_e32 v32, 0x2033784d
	v_mov_b32_e32 v33, 0x3f8226e1
	v_mov_b32_e32 v34, 0x9ac36ae2
	v_mov_b32_e32 v35, 0x3f9664f4
	v_mov_b32_e32 v36, 0x1b451c21
	v_mov_b32_e32 v37, 0x3faba1ba
	v_mov_b32_e32 v38, 0x111185b7
	v_mov_b32_e32 v39, 0x3fc11111
	v_mov_b32_e32 v40, 0x555554ee
	v_mov_b32_e32 v41, 0x3fd55555
	v_mov_b32_e32 v71, 0x7ff80000
	v_mov_b32_e32 v72, v14
	v_mov_b32_e32 v73, v15
	s_branch .LBB1_9
.LBB1_7:                                ;   in Loop: Header=BB1_9 Depth=1
	s_or_b64 exec, exec, s[0:1]
	v_mul_f64 v[46:47], v[8:9], v[8:9]
	v_fma_f64 v[74:75], v[8:9], v[8:9], -v[46:47]
	v_add_f64 v[76:77], v[44:45], v[44:45]
	v_fmac_f64_e32 v[74:75], v[8:9], v[76:77]
	v_add_f64 v[46:47], v[46:47], v[74:75]
	v_pk_mov_b32 v[74:75], v[16:17], v[16:17] op_sel:[0,1]
	v_fmac_f64_e32 v[74:75], s[80:81], v[46:47]
	v_pk_mov_b32 v[76:77], v[18:19], v[18:19] op_sel:[0,1]
	v_fmac_f64_e32 v[76:77], v[46:47], v[74:75]
	;; [unrolled: 2-line block ×13, first 2 shown]
	v_mul_f64 v[46:47], v[46:47], v[74:75]
	v_mul_f64 v[74:75], v[8:9], v[46:47]
	v_add_f64 v[76:77], v[8:9], v[74:75]
	v_fma_f64 v[46:47], v[8:9], v[46:47], -v[74:75]
	v_add_f64 v[8:9], v[76:77], -v[8:9]
	v_add_f64 v[8:9], v[74:75], -v[8:9]
	v_add_f64 v[44:45], v[44:45], v[46:47]
	v_add_f64 v[8:9], v[44:45], v[8:9]
	v_add_f64 v[44:45], v[76:77], v[8:9]
	v_rcp_f64_e32 v[46:47], v[44:45]
	v_add_f64 v[74:75], v[44:45], -v[76:77]
	v_add_f64 v[8:9], v[8:9], -v[74:75]
	v_and_b32_e32 v3, 1, v3
	v_fma_f64 v[74:75], -v[44:45], v[46:47], 1.0
	v_fmac_f64_e32 v[46:47], v[74:75], v[46:47]
	v_fma_f64 v[74:75], -v[44:45], v[46:47], 1.0
	v_fmac_f64_e32 v[46:47], v[74:75], v[46:47]
	v_mul_f64 v[74:75], v[44:45], v[46:47]
	v_fma_f64 v[76:77], v[46:47], v[44:45], -v[74:75]
	v_fmac_f64_e32 v[76:77], v[46:47], v[8:9]
	v_add_f64 v[8:9], v[74:75], v[76:77]
	v_add_f64 v[78:79], -v[8:9], 1.0
	v_add_f64 v[74:75], v[8:9], -v[74:75]
	v_add_f64 v[80:81], -v[78:79], 1.0
	v_add_f64 v[8:9], v[80:81], -v[8:9]
	v_add_f64 v[74:75], v[74:75], -v[76:77]
	v_add_f64 v[8:9], v[74:75], v[8:9]
	v_add_f64 v[8:9], v[78:79], v[8:9]
	v_mul_f64 v[8:9], v[46:47], v[8:9]
	v_add_f64 v[8:9], v[46:47], v[8:9]
	v_xor_b32_e32 v5, 0x80000000, v9
	v_cmp_eq_u32_e32 vcc, 0, v3
	v_cndmask_b32_e32 v3, v8, v44, vcc
	v_cndmask_b32_e32 v5, v5, v45, vcc
	v_and_b32_e32 v8, 0x80000000, v7
	v_xor_b32_e32 v5, v5, v8
	v_cmp_class_f64_e64 vcc, v[6:7], s91
	v_cndmask_b32_e32 v6, 0, v3, vcc
	v_cndmask_b32_e32 v7, v71, v5, vcc
	s_waitcnt lgkmcnt(0)
	v_pk_mov_b32 v[8:9], s[30:31], s[30:31] op_sel:[0,1]
	v_fma_f64 v[6:7], s[48:49], v[6:7], v[8:9]
	global_store_dwordx2 v4, v[6:7], s[28:29]
.LBB1_8:                                ;   in Loop: Header=BB1_9 Depth=1
	s_or_b64 exec, exec, s[36:37]
	v_add_co_u32_e32 v14, vcc, s86, v14
	v_mov_b32_e32 v3, v42
	v_addc_co_u32_e32 v15, vcc, 0, v15, vcc
	v_cmp_le_i64_e32 vcc, s[26:27], v[14:15]
	v_pk_mov_b32 v[6:7], v[2:3], v[2:3] op_sel:[0,1]
	s_or_b64 s[54:55], vcc, s[54:55]
	v_pk_mov_b32 v[4:5], v[0:1], v[0:1] op_sel:[0,1]
	s_waitcnt lgkmcnt(0)
	s_barrier
	s_andn2_b64 exec, exec, s[54:55]
	s_cbranch_execz .LBB1_58
.LBB1_9:                                ; =>This Loop Header: Depth=1
                                        ;     Child Loop BB1_24 Depth 2
                                        ;     Child Loop BB1_30 Depth 2
	;; [unrolled: 1-line block ×4, first 2 shown]
	v_add_co_u32_e32 v59, vcc, 1, v59
	v_cndmask_b32_e64 v0, 0, 1, vcc
	v_addc_co_u32_e32 v60, vcc, 0, v60, vcc
	v_cmp_eq_u32_e32 vcc, 0, v60
	v_cndmask_b32_e32 v0, 0, v0, vcc
	v_add_u32_e32 v72, v0, v72
	v_cmp_eq_u32_e32 vcc, 0, v72
	v_cndmask_b32_e32 v0, 0, v0, vcc
	v_add_u32_e32 v73, v0, v73
	v_mad_u64_u32 v[0:1], s[0:1], v59, s88, 0
	v_mad_u64_u32 v[2:3], s[0:1], v72, s89, 0
	v_xor_b32_e32 v1, v1, v11
	v_xor_b32_e32 v3, v3, v10
	v_xor_b32_e32 v1, v73, v1
	v_xor_b32_e32 v3, v60, v3
	v_mad_u64_u32 v[42:43], s[0:1], v1, s89, 0
	v_mad_u64_u32 v[8:9], s[0:1], v3, s88, 0
	v_xor_b32_e32 v1, v58, v43
	v_xor_b32_e32 v1, v1, v2
	v_xor_b32_e32 v2, v61, v9
	v_xor_b32_e32 v2, v2, v0
	;; [unrolled: 6-line block ×10, first 2 shown]
	v_mov_b32_e32 v1, v8
	v_mov_b32_e32 v2, v9
	v_cmp_lt_i32_e32 vcc, 1, v48
	s_and_saveexec_b64 s[0:1], vcc
	s_xor_b64 s[0:1], exec, s[0:1]
	s_cbranch_execz .LBB1_15
; %bb.10:                               ;   in Loop: Header=BB1_9 Depth=1
	v_cmp_lt_i32_e32 vcc, 2, v48
	s_and_saveexec_b64 s[2:3], vcc
	s_xor_b64 s[2:3], exec, s[2:3]
; %bb.11:                               ;   in Loop: Header=BB1_9 Depth=1
	v_mov_b32_e32 v6, v7
	v_mov_b32_e32 v7, v0
	v_pk_mov_b32 v[4:5], v[6:7], v[6:7] op_sel:[0,1]
	v_pk_mov_b32 v[6:7], v[8:9], v[8:9] op_sel:[0,1]
                                        ; implicit-def: $vgpr8_vgpr9
; %bb.12:                               ;   in Loop: Header=BB1_9 Depth=1
	s_andn2_saveexec_b64 s[2:3], s[2:3]
; %bb.13:                               ;   in Loop: Header=BB1_9 Depth=1
	v_mov_b32_e32 v4, v6
	v_mov_b32_e32 v5, v7
	;; [unrolled: 1-line block ×4, first 2 shown]
; %bb.14:                               ;   in Loop: Header=BB1_9 Depth=1
	s_or_b64 exec, exec, s[2:3]
.LBB1_15:                               ;   in Loop: Header=BB1_9 Depth=1
	s_andn2_saveexec_b64 s[0:1], s[0:1]
	s_cbranch_execz .LBB1_19
; %bb.16:                               ;   in Loop: Header=BB1_9 Depth=1
	v_cmp_eq_u32_e32 vcc, 1, v48
	s_and_saveexec_b64 s[2:3], vcc
; %bb.17:                               ;   in Loop: Header=BB1_9 Depth=1
	v_mov_b32_e32 v4, v5
	v_mov_b32_e32 v5, v6
	v_mov_b32_e32 v6, v7
	v_mov_b32_e32 v7, v0
; %bb.18:                               ;   in Loop: Header=BB1_9 Depth=1
	s_or_b64 exec, exec, s[2:3]
.LBB1_19:                               ;   in Loop: Header=BB1_9 Depth=1
	s_or_b64 exec, exec, s[0:1]
	v_cndmask_b32_e64 v3, 0, 1, s[40:41]
	v_cmp_gt_i64_e32 vcc, s[24:25], v[14:15]
	v_cmp_ne_u32_e64 s[0:1], 1, v3
	s_and_saveexec_b64 s[82:83], vcc
	s_cbranch_execz .LBB1_39
; %bb.20:                               ;   in Loop: Header=BB1_9 Depth=1
	s_and_b64 vcc, exec, s[0:1]
	s_cbranch_vccnz .LBB1_26
; %bb.21:                               ;   in Loop: Header=BB1_9 Depth=1
	s_andn2_b64 vcc, exec, s[42:43]
	s_cbranch_vccnz .LBB1_27
; %bb.22:                               ;   in Loop: Header=BB1_9 Depth=1
	s_mov_b32 s4, 0
	s_andn2_b64 vcc, exec, s[52:53]
	v_mov_b32_e32 v8, 0
	s_cbranch_vccnz .LBB1_28
; %bb.23:                               ;   in Loop: Header=BB1_9 Depth=1
	s_mov_b32 s66, 0
	v_mov_b32_e32 v8, 0
	s_mov_b64 s[2:3], s[34:35]
	s_mov_b64 s[84:85], s[44:45]
	v_mov_b32_e32 v3, v14
.LBB1_24:                               ;   Parent Loop BB1_9 Depth=1
                                        ; =>  This Inner Loop Header: Depth=2
	s_load_dwordx8 s[16:23], s[2:3], 0x4
	s_load_dwordx4 s[4:7], s[2:3], 0x24
	s_load_dwordx4 s[36:39], s[84:85], 0x0
	s_add_u32 s2, s2, 48
	s_addc_u32 s3, s3, 0
	s_waitcnt lgkmcnt(0)
	v_mul_hi_u32 v9, s17, v3
	v_add_u32_e32 v9, v3, v9
	v_lshrrev_b32_e32 v9, s18, v9
	v_mul_lo_u32 v13, v9, s16
	v_mul_hi_u32 v43, s20, v9
	v_sub_u32_e32 v3, v3, v13
	v_add_u32_e32 v13, v9, v43
	v_lshrrev_b32_e32 v13, s21, v13
	v_mul_lo_u32 v43, v13, s19
	v_mul_hi_u32 v44, s23, v13
	v_sub_u32_e32 v9, v9, v43
	v_add_u32_e32 v43, v13, v44
	v_mul_lo_u32 v3, v3, s36
	v_mul_lo_u32 v9, v9, s37
	v_lshrrev_b32_e32 v43, s4, v43
	v_add3_u32 v8, v3, v8, v9
	v_mul_lo_u32 v3, v43, s22
	v_mul_hi_u32 v9, s6, v43
	v_sub_u32_e32 v3, v13, v3
	v_add_u32_e32 v9, v43, v9
	v_mul_lo_u32 v13, v3, s38
	v_lshrrev_b32_e32 v3, s7, v9
	s_add_i32 s66, s66, 4
	v_mul_lo_u32 v9, v3, s5
	s_add_u32 s84, s84, 16
	v_sub_u32_e32 v9, v43, v9
	s_addc_u32 s85, s85, 0
	v_mul_lo_u32 v9, v9, s39
	s_cmp_lg_u32 s15, s66
	v_add3_u32 v8, v13, v8, v9
	s_cbranch_scc1 .LBB1_24
; %bb.25:                               ;   in Loop: Header=BB1_9 Depth=1
	s_mov_b32 s4, s15
	s_andn2_b64 vcc, exec, s[56:57]
	s_cbranch_vccz .LBB1_29
	s_branch .LBB1_31
.LBB1_26:                               ;   in Loop: Header=BB1_9 Depth=1
                                        ; implicit-def: $vgpr8
	s_branch .LBB1_32
.LBB1_27:                               ;   in Loop: Header=BB1_9 Depth=1
	v_mov_b32_e32 v8, 0
	s_branch .LBB1_31
.LBB1_28:                               ;   in Loop: Header=BB1_9 Depth=1
	v_mov_b32_e32 v3, v14
	s_andn2_b64 vcc, exec, s[56:57]
	s_cbranch_vccnz .LBB1_31
.LBB1_29:                               ;   in Loop: Header=BB1_9 Depth=1
	s_lshl_b32 s2, s4, 2
	s_add_u32 s2, s44, s2
	s_addc_u32 s3, s45, 0
	s_mul_i32 s4, s4, 12
	s_add_u32 s4, s34, s4
	s_addc_u32 s5, s35, 0
	s_mov_b32 s6, s13
.LBB1_30:                               ;   Parent Loop BB1_9 Depth=1
                                        ; =>  This Inner Loop Header: Depth=2
	s_load_dwordx2 s[16:17], s[4:5], 0x4
	s_load_dword s7, s[4:5], 0xc
	s_load_dword s18, s[2:3], 0x0
	s_add_u32 s4, s4, 12
	s_addc_u32 s5, s5, 0
	s_waitcnt lgkmcnt(0)
	v_mul_hi_u32 v9, s17, v3
	v_add_u32_e32 v9, v3, v9
	v_lshrrev_b32_e32 v9, s7, v9
	s_add_u32 s2, s2, 4
	v_mul_lo_u32 v13, v9, s16
	s_addc_u32 s3, s3, 0
	s_add_i32 s6, s6, -1
	v_sub_u32_e32 v13, v3, v13
	s_cmp_lg_u32 s6, 0
	v_mov_b32_e32 v3, v9
	v_mad_u64_u32 v[8:9], s[16:17], v13, s18, v[8:9]
	s_cbranch_scc1 .LBB1_30
.LBB1_31:                               ;   in Loop: Header=BB1_9 Depth=1
	s_cbranch_execnz .LBB1_34
.LBB1_32:                               ;   in Loop: Header=BB1_9 Depth=1
	v_mul_hi_u32 v3, v14, s10
	v_add_u32_e32 v3, v3, v14
	v_lshrrev_b32_e32 v3, s11, v3
	v_mul_lo_u32 v8, v3, s9
	v_sub_u32_e32 v8, v14, v8
	s_andn2_b64 vcc, exec, s[46:47]
	s_waitcnt lgkmcnt(0)
	v_mul_lo_u32 v8, v8, s50
	s_cbranch_vccnz .LBB1_34
; %bb.33:                               ;   in Loop: Header=BB1_9 Depth=1
	v_mul_hi_u32 v9, s8, v3
	v_add_u32_e32 v9, v3, v9
	v_lshrrev_b32_e32 v9, s14, v9
	v_mul_lo_u32 v9, v9, s12
	v_sub_u32_e32 v3, v3, v9
	v_mad_u64_u32 v[8:9], s[2:3], v3, s51, v[8:9]
.LBB1_34:                               ;   in Loop: Header=BB1_9 Depth=1
	v_lshrrev_b32_e32 v3, 11, v5
	v_cvt_f64_u32_e32 v[44:45], v3
	v_ldexp_f64 v[44:45], v[44:45], 32
	v_cvt_f64_u32_e32 v[4:5], v4
	v_add_f64 v[4:5], v[44:45], v[4:5]
	v_mov_b32_e32 v44, 0
	v_mov_b32_e32 v45, 0x3ca00000
	v_fmac_f64_e32 v[44:45], 0x3ca00000, v[4:5]
	v_add_f64 v[4:5], v[44:45], -0.5
	v_mul_f64 v[4:5], v[4:5], s[58:59]
	v_cmp_nlt_f64_e64 s[2:3], |v[4:5]|, s[60:61]
                                        ; implicit-def: $vgpr3
                                        ; implicit-def: $vgpr44_vgpr45
                                        ; implicit-def: $vgpr46_vgpr47
	s_and_saveexec_b64 s[4:5], s[2:3]
	s_xor_b64 s[4:5], exec, s[4:5]
	s_cbranch_execz .LBB1_36
; %bb.35:                               ;   in Loop: Header=BB1_9 Depth=1
	v_and_b32_e32 v3, 0x7fffffff, v5
	v_ldexp_f64 v[74:75], |v[4:5]|, s90
	v_cmp_ge_f64_e64 vcc, |v[4:5]|, s[62:63]
	v_trig_preop_f64 v[44:45], |v[4:5]|, 0
	v_cndmask_b32_e32 v75, v3, v75, vcc
	v_cndmask_b32_e32 v74, v4, v74, vcc
	v_trig_preop_f64 v[46:47], |v[4:5]|, 1
	v_mul_f64 v[78:79], v[44:45], v[74:75]
	v_mul_f64 v[76:77], v[46:47], v[74:75]
	v_fma_f64 v[44:45], v[44:45], v[74:75], -v[78:79]
	v_add_f64 v[80:81], v[76:77], v[44:45]
	v_add_f64 v[82:83], v[78:79], v[80:81]
	v_ldexp_f64 v[84:85], v[82:83], -2
	v_fract_f64_e32 v[86:87], v[84:85]
	v_cmp_neq_f64_e64 vcc, |v[84:85]|, s[64:65]
	v_cndmask_b32_e32 v85, 0, v87, vcc
	v_cndmask_b32_e32 v84, 0, v86, vcc
	v_add_f64 v[86:87], v[80:81], -v[76:77]
	v_add_f64 v[44:45], v[44:45], -v[86:87]
	;; [unrolled: 1-line block ×4, first 2 shown]
	v_fma_f64 v[46:47], v[46:47], v[74:75], -v[76:77]
	v_trig_preop_f64 v[76:77], |v[4:5]|, 2
	v_add_f64 v[44:45], v[44:45], v[86:87]
	v_mul_f64 v[86:87], v[76:77], v[74:75]
	v_add_f64 v[88:89], v[86:87], v[46:47]
	v_add_f64 v[90:91], v[88:89], v[44:45]
	v_add_f64 v[78:79], v[82:83], -v[78:79]
	v_add_f64 v[82:83], v[90:91], -v[88:89]
	;; [unrolled: 1-line block ×5, first 2 shown]
	v_add_f64 v[44:45], v[44:45], v[82:83]
	v_add_f64 v[82:83], v[88:89], -v[86:87]
	v_add_f64 v[46:47], v[46:47], -v[82:83]
	;; [unrolled: 1-line block ×4, first 2 shown]
	v_add_f64 v[46:47], v[46:47], v[82:83]
	v_add_f64 v[78:79], v[80:81], -v[78:79]
	v_add_f64 v[44:45], v[46:47], v[44:45]
	v_fma_f64 v[46:47], v[76:77], v[74:75], -v[86:87]
	v_add_f64 v[80:81], v[78:79], v[90:91]
	v_add_f64 v[44:45], v[46:47], v[44:45]
	v_ldexp_f64 v[46:47], v[84:85], 2
	v_add_f64 v[74:75], v[80:81], v[46:47]
	v_cmp_gt_f64_e32 vcc, 0, v[74:75]
	v_cndmask_b32_e32 v13, 0, v69, vcc
	v_add_f64 v[46:47], v[46:47], v[12:13]
	v_add_f64 v[74:75], v[80:81], v[46:47]
	v_cvt_i32_f64_e32 v3, v[74:75]
	v_cvt_f64_i32_e32 v[74:75], v3
	v_add_f64 v[46:47], v[46:47], -v[74:75]
	v_add_f64 v[78:79], v[80:81], -v[78:79]
	v_add_f64 v[74:75], v[80:81], v[46:47]
	v_add_f64 v[78:79], v[90:91], -v[78:79]
	v_add_f64 v[46:47], v[74:75], -v[46:47]
	v_cmp_le_f64_e32 vcc, 0.5, v[74:75]
	v_add_f64 v[44:45], v[78:79], v[44:45]
	v_add_f64 v[46:47], v[80:81], -v[46:47]
	v_cndmask_b32_e32 v13, 0, v70, vcc
	v_add_f64 v[44:45], v[44:45], v[46:47]
	v_add_f64 v[46:47], v[74:75], -v[12:13]
	v_add_f64 v[74:75], v[46:47], v[44:45]
	v_add_f64 v[46:47], v[74:75], -v[46:47]
	s_mov_b32 s66, s58
	v_add_f64 v[44:45], v[44:45], -v[46:47]
	v_mul_f64 v[46:47], v[74:75], s[66:67]
	v_fma_f64 v[76:77], v[74:75], s[66:67], -v[46:47]
	s_mov_b32 s71, s69
	v_fmac_f64_e32 v[76:77], s[70:71], v[74:75]
	v_fmac_f64_e32 v[76:77], s[66:67], v[44:45]
	v_add_f64 v[44:45], v[46:47], v[76:77]
	v_add_f64 v[46:47], v[44:45], -v[46:47]
	v_addc_co_u32_e64 v3, s[2:3], 0, v3, vcc
	v_add_f64 v[46:47], v[76:77], -v[46:47]
.LBB1_36:                               ;   in Loop: Header=BB1_9 Depth=1
	s_andn2_saveexec_b64 s[2:3], s[4:5]
	s_cbranch_execz .LBB1_38
; %bb.37:                               ;   in Loop: Header=BB1_9 Depth=1
	v_mul_f64 v[44:45], |v[4:5]|, s[72:73]
	v_rndne_f64_e32 v[74:75], v[44:45]
	s_mov_b32 s74, s58
	v_fma_f64 v[44:45], v[74:75], s[74:75], |v[4:5]|
	v_mul_f64 v[76:77], v[74:75], s[76:77]
	v_add_f64 v[80:81], v[44:45], v[76:77]
	v_fma_f64 v[46:47], s[76:77], v[74:75], v[44:45]
	s_mov_b32 s68, s76
	v_add_f64 v[44:45], v[44:45], -v[80:81]
	v_fma_f64 v[78:79], s[68:69], v[74:75], v[76:77]
	v_add_f64 v[44:45], v[44:45], v[76:77]
	v_add_f64 v[76:77], v[80:81], -v[46:47]
	v_add_f64 v[44:45], v[76:77], v[44:45]
	v_add_f64 v[76:77], v[44:45], -v[78:79]
	v_fmac_f64_e32 v[76:77], s[78:79], v[74:75]
	v_add_f64 v[44:45], v[46:47], v[76:77]
	v_add_f64 v[46:47], v[44:45], -v[46:47]
	v_add_f64 v[46:47], v[76:77], -v[46:47]
	v_cvt_i32_f64_e32 v3, v[74:75]
.LBB1_38:                               ;   in Loop: Header=BB1_9 Depth=1
	s_or_b64 exec, exec, s[2:3]
	v_mul_f64 v[74:75], v[44:45], v[44:45]
	v_fma_f64 v[76:77], v[44:45], v[44:45], -v[74:75]
	v_add_f64 v[78:79], v[46:47], v[46:47]
	v_fmac_f64_e32 v[76:77], v[44:45], v[78:79]
	v_add_f64 v[74:75], v[74:75], v[76:77]
	v_pk_mov_b32 v[76:77], v[16:17], v[16:17] op_sel:[0,1]
	v_fmac_f64_e32 v[76:77], s[80:81], v[74:75]
	v_pk_mov_b32 v[78:79], v[18:19], v[18:19] op_sel:[0,1]
	v_fmac_f64_e32 v[78:79], v[74:75], v[76:77]
	;; [unrolled: 2-line block ×13, first 2 shown]
	v_mul_f64 v[74:75], v[74:75], v[76:77]
	v_mul_f64 v[76:77], v[44:45], v[74:75]
	v_add_f64 v[78:79], v[44:45], v[76:77]
	v_fma_f64 v[74:75], v[44:45], v[74:75], -v[76:77]
	v_add_f64 v[44:45], v[78:79], -v[44:45]
	v_add_f64 v[44:45], v[76:77], -v[44:45]
	v_add_f64 v[46:47], v[46:47], v[74:75]
	v_add_f64 v[44:45], v[46:47], v[44:45]
	;; [unrolled: 1-line block ×3, first 2 shown]
	v_rcp_f64_e32 v[74:75], v[46:47]
	v_add_f64 v[76:77], v[46:47], -v[78:79]
	v_add_f64 v[44:45], v[44:45], -v[76:77]
	v_and_b32_e32 v3, 1, v3
	v_fma_f64 v[76:77], -v[46:47], v[74:75], 1.0
	v_fmac_f64_e32 v[74:75], v[76:77], v[74:75]
	v_fma_f64 v[76:77], -v[46:47], v[74:75], 1.0
	v_fmac_f64_e32 v[74:75], v[76:77], v[74:75]
	v_mul_f64 v[76:77], v[46:47], v[74:75]
	v_fma_f64 v[78:79], v[74:75], v[46:47], -v[76:77]
	v_fmac_f64_e32 v[78:79], v[74:75], v[44:45]
	v_add_f64 v[44:45], v[76:77], v[78:79]
	v_add_f64 v[80:81], -v[44:45], 1.0
	v_add_f64 v[76:77], v[44:45], -v[76:77]
	v_add_f64 v[82:83], -v[80:81], 1.0
	v_add_f64 v[44:45], v[82:83], -v[44:45]
	v_add_f64 v[76:77], v[76:77], -v[78:79]
	v_add_f64 v[44:45], v[76:77], v[44:45]
	v_add_f64 v[44:45], v[80:81], v[44:45]
	v_mul_f64 v[44:45], v[74:75], v[44:45]
	v_add_f64 v[44:45], v[74:75], v[44:45]
	v_xor_b32_e32 v9, 0x80000000, v45
	v_cmp_eq_u32_e32 vcc, 0, v3
	v_cndmask_b32_e32 v9, v9, v47, vcc
	v_and_b32_e32 v13, 0x80000000, v5
	v_cndmask_b32_e32 v3, v44, v46, vcc
	v_xor_b32_e32 v9, v9, v13
	v_cmp_class_f64_e64 vcc, v[4:5], s91
	v_cndmask_b32_e32 v4, 0, v3, vcc
	v_cndmask_b32_e32 v5, v71, v9, vcc
	s_waitcnt lgkmcnt(0)
	v_pk_mov_b32 v[44:45], s[30:31], s[30:31] op_sel:[0,1]
	v_fma_f64 v[4:5], s[48:49], v[4:5], v[44:45]
	global_store_dwordx2 v8, v[4:5], s[28:29]
.LBB1_39:                               ;   in Loop: Header=BB1_9 Depth=1
	s_or_b64 exec, exec, s[82:83]
	v_mov_b32_e32 v3, s87
	v_add_co_u32_e32 v8, vcc, s33, v14
	v_addc_co_u32_e32 v9, vcc, v15, v3, vcc
	v_cmp_gt_i64_e32 vcc, s[24:25], v[8:9]
	s_and_saveexec_b64 s[36:37], vcc
	s_cbranch_execz .LBB1_8
; %bb.40:                               ;   in Loop: Header=BB1_9 Depth=1
	s_and_b64 vcc, exec, s[0:1]
	s_cbranch_vccnz .LBB1_46
; %bb.41:                               ;   in Loop: Header=BB1_9 Depth=1
	s_andn2_b64 vcc, exec, s[42:43]
	s_cbranch_vccnz .LBB1_47
; %bb.42:                               ;   in Loop: Header=BB1_9 Depth=1
	s_mov_b32 s2, 0
	s_andn2_b64 vcc, exec, s[52:53]
	v_mov_b32_e32 v4, 0
	s_cbranch_vccnz .LBB1_48
; %bb.43:                               ;   in Loop: Header=BB1_9 Depth=1
	s_mov_b32 s66, 0
	v_mov_b32_e32 v4, 0
	s_mov_b64 s[38:39], s[34:35]
	s_mov_b64 s[82:83], s[44:45]
	v_mov_b32_e32 v3, v8
.LBB1_44:                               ;   Parent Loop BB1_9 Depth=1
                                        ; =>  This Inner Loop Header: Depth=2
	s_load_dwordx8 s[0:7], s[38:39], 0x4
	s_load_dwordx4 s[16:19], s[38:39], 0x24
	s_load_dwordx4 s[20:23], s[82:83], 0x0
	s_add_u32 s38, s38, 48
	s_addc_u32 s39, s39, 0
	s_waitcnt lgkmcnt(0)
	v_mul_hi_u32 v5, s1, v3
	v_add_u32_e32 v5, v3, v5
	v_lshrrev_b32_e32 v5, s2, v5
	v_mul_lo_u32 v9, v5, s0
	v_mul_hi_u32 v13, s4, v5
	v_sub_u32_e32 v3, v3, v9
	v_add_u32_e32 v9, v5, v13
	v_lshrrev_b32_e32 v9, s5, v9
	v_mul_lo_u32 v13, v9, s3
	v_mul_hi_u32 v43, s7, v9
	v_sub_u32_e32 v5, v5, v13
	v_add_u32_e32 v13, v9, v43
	v_mul_lo_u32 v3, v3, s20
	v_mul_lo_u32 v5, v5, s21
	v_lshrrev_b32_e32 v13, s16, v13
	v_add3_u32 v4, v3, v4, v5
	v_mul_lo_u32 v3, v13, s6
	v_mul_hi_u32 v5, s18, v13
	v_sub_u32_e32 v3, v9, v3
	v_add_u32_e32 v5, v13, v5
	v_mul_lo_u32 v9, v3, s22
	v_lshrrev_b32_e32 v3, s19, v5
	s_add_i32 s66, s66, 4
	v_mul_lo_u32 v5, v3, s17
	s_add_u32 s82, s82, 16
	v_sub_u32_e32 v5, v13, v5
	s_addc_u32 s83, s83, 0
	v_mul_lo_u32 v5, v5, s23
	s_cmp_eq_u32 s15, s66
	v_add3_u32 v4, v9, v4, v5
	s_cbranch_scc0 .LBB1_44
; %bb.45:                               ;   in Loop: Header=BB1_9 Depth=1
	s_mov_b32 s2, s15
	s_andn2_b64 vcc, exec, s[56:57]
	s_cbranch_vccz .LBB1_49
	s_branch .LBB1_51
.LBB1_46:                               ;   in Loop: Header=BB1_9 Depth=1
                                        ; implicit-def: $vgpr4
	s_branch .LBB1_52
.LBB1_47:                               ;   in Loop: Header=BB1_9 Depth=1
	v_mov_b32_e32 v4, 0
	s_branch .LBB1_51
.LBB1_48:                               ;   in Loop: Header=BB1_9 Depth=1
	v_mov_b32_e32 v3, v8
	s_andn2_b64 vcc, exec, s[56:57]
	s_cbranch_vccnz .LBB1_51
.LBB1_49:                               ;   in Loop: Header=BB1_9 Depth=1
	s_lshl_b32 s0, s2, 2
	s_add_u32 s0, s44, s0
	s_addc_u32 s1, s45, 0
	s_mul_i32 s2, s2, 12
	s_add_u32 s2, s34, s2
	s_addc_u32 s3, s35, 0
	s_mov_b32 s4, s13
.LBB1_50:                               ;   Parent Loop BB1_9 Depth=1
                                        ; =>  This Inner Loop Header: Depth=2
	s_load_dwordx2 s[6:7], s[2:3], 0x4
	s_load_dword s5, s[2:3], 0xc
	s_load_dword s16, s[0:1], 0x0
	s_add_u32 s2, s2, 12
	s_addc_u32 s3, s3, 0
	s_waitcnt lgkmcnt(0)
	v_mul_hi_u32 v5, s7, v3
	v_add_u32_e32 v5, v3, v5
	v_lshrrev_b32_e32 v5, s5, v5
	s_add_u32 s0, s0, 4
	v_mul_lo_u32 v9, v5, s6
	s_addc_u32 s1, s1, 0
	s_add_i32 s4, s4, -1
	v_sub_u32_e32 v9, v3, v9
	s_cmp_lg_u32 s4, 0
	v_mov_b32_e32 v3, v5
	v_mad_u64_u32 v[4:5], s[6:7], v9, s16, v[4:5]
	s_cbranch_scc1 .LBB1_50
.LBB1_51:                               ;   in Loop: Header=BB1_9 Depth=1
	s_cbranch_execnz .LBB1_54
.LBB1_52:                               ;   in Loop: Header=BB1_9 Depth=1
	v_mul_hi_u32 v3, v8, s10
	v_add_u32_e32 v3, v3, v8
	v_lshrrev_b32_e32 v3, s11, v3
	v_mul_lo_u32 v4, v3, s9
	v_sub_u32_e32 v4, v8, v4
	s_andn2_b64 vcc, exec, s[46:47]
	s_waitcnt lgkmcnt(0)
	v_mul_lo_u32 v4, v4, s50
	s_cbranch_vccnz .LBB1_54
; %bb.53:                               ;   in Loop: Header=BB1_9 Depth=1
	v_mul_hi_u32 v5, s8, v3
	v_add_u32_e32 v5, v3, v5
	v_lshrrev_b32_e32 v5, s14, v5
	v_mul_lo_u32 v5, v5, s12
	v_sub_u32_e32 v3, v3, v5
	v_mad_u64_u32 v[4:5], s[0:1], v3, s51, v[4:5]
.LBB1_54:                               ;   in Loop: Header=BB1_9 Depth=1
	v_lshrrev_b32_e32 v3, 11, v7
	v_cvt_f64_u32_e32 v[8:9], v3
	v_ldexp_f64 v[8:9], v[8:9], 32
	v_cvt_f64_u32_e32 v[6:7], v6
	v_add_f64 v[6:7], v[8:9], v[6:7]
	v_mov_b32_e32 v8, 0
	v_mov_b32_e32 v9, 0x3ca00000
	v_fmac_f64_e32 v[8:9], 0x3ca00000, v[6:7]
	v_add_f64 v[6:7], v[8:9], -0.5
	v_mul_f64 v[6:7], v[6:7], s[58:59]
	v_cmp_nlt_f64_e64 s[0:1], |v[6:7]|, s[60:61]
                                        ; implicit-def: $vgpr3
                                        ; implicit-def: $vgpr8_vgpr9
                                        ; implicit-def: $vgpr44_vgpr45
	s_and_saveexec_b64 s[2:3], s[0:1]
	s_xor_b64 s[2:3], exec, s[2:3]
	s_cbranch_execz .LBB1_56
; %bb.55:                               ;   in Loop: Header=BB1_9 Depth=1
	v_and_b32_e32 v3, 0x7fffffff, v7
	v_ldexp_f64 v[46:47], |v[6:7]|, s90
	v_cmp_ge_f64_e64 vcc, |v[6:7]|, s[62:63]
	v_trig_preop_f64 v[8:9], |v[6:7]|, 0
	v_cndmask_b32_e32 v47, v3, v47, vcc
	v_cndmask_b32_e32 v46, v6, v46, vcc
	v_trig_preop_f64 v[44:45], |v[6:7]|, 1
	v_mul_f64 v[76:77], v[8:9], v[46:47]
	v_mul_f64 v[74:75], v[44:45], v[46:47]
	v_fma_f64 v[8:9], v[8:9], v[46:47], -v[76:77]
	v_add_f64 v[78:79], v[74:75], v[8:9]
	v_add_f64 v[80:81], v[76:77], v[78:79]
	v_ldexp_f64 v[82:83], v[80:81], -2
	v_fract_f64_e32 v[84:85], v[82:83]
	v_cmp_neq_f64_e64 vcc, |v[82:83]|, s[64:65]
	v_cndmask_b32_e32 v83, 0, v85, vcc
	v_cndmask_b32_e32 v82, 0, v84, vcc
	v_add_f64 v[84:85], v[78:79], -v[74:75]
	v_add_f64 v[8:9], v[8:9], -v[84:85]
	;; [unrolled: 1-line block ×4, first 2 shown]
	v_fma_f64 v[44:45], v[44:45], v[46:47], -v[74:75]
	v_trig_preop_f64 v[74:75], |v[6:7]|, 2
	v_add_f64 v[8:9], v[8:9], v[84:85]
	v_mul_f64 v[84:85], v[74:75], v[46:47]
	v_add_f64 v[86:87], v[84:85], v[44:45]
	v_add_f64 v[88:89], v[86:87], v[8:9]
	v_add_f64 v[76:77], v[80:81], -v[76:77]
	v_add_f64 v[80:81], v[88:89], -v[86:87]
	;; [unrolled: 1-line block ×5, first 2 shown]
	v_add_f64 v[8:9], v[8:9], v[80:81]
	v_add_f64 v[80:81], v[86:87], -v[84:85]
	v_add_f64 v[44:45], v[44:45], -v[80:81]
	;; [unrolled: 1-line block ×4, first 2 shown]
	v_add_f64 v[44:45], v[44:45], v[80:81]
	v_add_f64 v[76:77], v[78:79], -v[76:77]
	v_add_f64 v[8:9], v[44:45], v[8:9]
	v_fma_f64 v[44:45], v[74:75], v[46:47], -v[84:85]
	v_add_f64 v[78:79], v[76:77], v[88:89]
	v_add_f64 v[8:9], v[44:45], v[8:9]
	v_ldexp_f64 v[44:45], v[82:83], 2
	v_add_f64 v[46:47], v[78:79], v[44:45]
	v_cmp_gt_f64_e32 vcc, 0, v[46:47]
	v_cndmask_b32_e32 v13, 0, v69, vcc
	v_add_f64 v[44:45], v[44:45], v[12:13]
	v_add_f64 v[46:47], v[78:79], v[44:45]
	v_cvt_i32_f64_e32 v3, v[46:47]
	v_cvt_f64_i32_e32 v[46:47], v3
	v_add_f64 v[44:45], v[44:45], -v[46:47]
	v_add_f64 v[76:77], v[78:79], -v[76:77]
	v_add_f64 v[46:47], v[78:79], v[44:45]
	v_add_f64 v[76:77], v[88:89], -v[76:77]
	v_add_f64 v[44:45], v[46:47], -v[44:45]
	v_cmp_le_f64_e32 vcc, 0.5, v[46:47]
	v_add_f64 v[8:9], v[76:77], v[8:9]
	v_add_f64 v[44:45], v[78:79], -v[44:45]
	v_cndmask_b32_e32 v13, 0, v70, vcc
	v_add_f64 v[8:9], v[8:9], v[44:45]
	v_add_f64 v[44:45], v[46:47], -v[12:13]
	v_add_f64 v[46:47], v[44:45], v[8:9]
	v_add_f64 v[44:45], v[46:47], -v[44:45]
	s_mov_b32 s66, s58
	v_add_f64 v[8:9], v[8:9], -v[44:45]
	v_mul_f64 v[44:45], v[46:47], s[66:67]
	v_fma_f64 v[74:75], v[46:47], s[66:67], -v[44:45]
	s_mov_b32 s71, s69
	v_fmac_f64_e32 v[74:75], s[70:71], v[46:47]
	v_fmac_f64_e32 v[74:75], s[66:67], v[8:9]
	v_add_f64 v[8:9], v[44:45], v[74:75]
	v_add_f64 v[44:45], v[8:9], -v[44:45]
	v_addc_co_u32_e64 v3, s[0:1], 0, v3, vcc
	v_add_f64 v[44:45], v[74:75], -v[44:45]
.LBB1_56:                               ;   in Loop: Header=BB1_9 Depth=1
	s_andn2_saveexec_b64 s[0:1], s[2:3]
	s_cbranch_execz .LBB1_7
; %bb.57:                               ;   in Loop: Header=BB1_9 Depth=1
	v_mul_f64 v[8:9], |v[6:7]|, s[72:73]
	v_rndne_f64_e32 v[46:47], v[8:9]
	s_mov_b32 s74, s58
	v_fma_f64 v[8:9], v[46:47], s[74:75], |v[6:7]|
	v_mul_f64 v[74:75], v[46:47], s[76:77]
	v_add_f64 v[78:79], v[8:9], v[74:75]
	v_fma_f64 v[44:45], s[76:77], v[46:47], v[8:9]
	s_mov_b32 s68, s76
	v_add_f64 v[8:9], v[8:9], -v[78:79]
	v_fma_f64 v[76:77], s[68:69], v[46:47], v[74:75]
	v_add_f64 v[8:9], v[8:9], v[74:75]
	v_add_f64 v[74:75], v[78:79], -v[44:45]
	v_add_f64 v[8:9], v[74:75], v[8:9]
	v_add_f64 v[74:75], v[8:9], -v[76:77]
	v_fmac_f64_e32 v[74:75], s[78:79], v[46:47]
	v_add_f64 v[8:9], v[44:45], v[74:75]
	v_add_f64 v[44:45], v[8:9], -v[44:45]
	v_add_f64 v[44:45], v[74:75], -v[44:45]
	v_cvt_i32_f64_e32 v3, v[46:47]
	s_branch .LBB1_7
.LBB1_58:
	s_endpgm
.LBB1_59:
                                        ; implicit-def: $sgpr2_sgpr3
	s_andn2_b64 vcc, exec, s[0:1]
	s_cbranch_vccz .LBB1_4
	s_branch .LBB1_5
	.section	.rodata,"a",@progbits
	.p2align	6, 0x0
	.amdhsa_kernel _ZN2at6native12_GLOBAL__N_143distribution_elementwise_grid_stride_kernelIdLi2EZNS0_9templates4cuda21uniform_and_transformIddPNS_17CUDAGeneratorImplEZZZNS4_13cauchy_kernelIS7_EEvRNS_18TensorIteratorBaseEddT_ENKUlvE_clEvENKUlvE_clEvEUldE_EEvSA_T1_T2_EUlP25hiprandStatePhilox4_32_10E_ZNS1_27distribution_nullary_kernelIdd15HIP_vector_typeIdLj2EES7_SJ_SE_EEvSA_SG_RKT3_T4_EUlidE0_EEvlNS_15PhiloxCudaStateESF_SG_
		.amdhsa_group_segment_fixed_size 0
		.amdhsa_private_segment_fixed_size 0
		.amdhsa_kernarg_size 592
		.amdhsa_user_sgpr_count 6
		.amdhsa_user_sgpr_private_segment_buffer 1
		.amdhsa_user_sgpr_dispatch_ptr 0
		.amdhsa_user_sgpr_queue_ptr 0
		.amdhsa_user_sgpr_kernarg_segment_ptr 1
		.amdhsa_user_sgpr_dispatch_id 0
		.amdhsa_user_sgpr_flat_scratch_init 0
		.amdhsa_user_sgpr_kernarg_preload_length 0
		.amdhsa_user_sgpr_kernarg_preload_offset 0
		.amdhsa_user_sgpr_private_segment_size 0
		.amdhsa_uses_dynamic_stack 0
		.amdhsa_system_sgpr_private_segment_wavefront_offset 0
		.amdhsa_system_sgpr_workgroup_id_x 1
		.amdhsa_system_sgpr_workgroup_id_y 0
		.amdhsa_system_sgpr_workgroup_id_z 0
		.amdhsa_system_sgpr_workgroup_info 0
		.amdhsa_system_vgpr_workitem_id 0
		.amdhsa_next_free_vgpr 92
		.amdhsa_next_free_sgpr 92
		.amdhsa_accum_offset 92
		.amdhsa_reserve_vcc 1
		.amdhsa_reserve_flat_scratch 0
		.amdhsa_float_round_mode_32 0
		.amdhsa_float_round_mode_16_64 0
		.amdhsa_float_denorm_mode_32 3
		.amdhsa_float_denorm_mode_16_64 3
		.amdhsa_dx10_clamp 1
		.amdhsa_ieee_mode 1
		.amdhsa_fp16_overflow 0
		.amdhsa_tg_split 0
		.amdhsa_exception_fp_ieee_invalid_op 0
		.amdhsa_exception_fp_denorm_src 0
		.amdhsa_exception_fp_ieee_div_zero 0
		.amdhsa_exception_fp_ieee_overflow 0
		.amdhsa_exception_fp_ieee_underflow 0
		.amdhsa_exception_fp_ieee_inexact 0
		.amdhsa_exception_int_div_zero 0
	.end_amdhsa_kernel
	.section	.text._ZN2at6native12_GLOBAL__N_143distribution_elementwise_grid_stride_kernelIdLi2EZNS0_9templates4cuda21uniform_and_transformIddPNS_17CUDAGeneratorImplEZZZNS4_13cauchy_kernelIS7_EEvRNS_18TensorIteratorBaseEddT_ENKUlvE_clEvENKUlvE_clEvEUldE_EEvSA_T1_T2_EUlP25hiprandStatePhilox4_32_10E_ZNS1_27distribution_nullary_kernelIdd15HIP_vector_typeIdLj2EES7_SJ_SE_EEvSA_SG_RKT3_T4_EUlidE0_EEvlNS_15PhiloxCudaStateESF_SG_,"axG",@progbits,_ZN2at6native12_GLOBAL__N_143distribution_elementwise_grid_stride_kernelIdLi2EZNS0_9templates4cuda21uniform_and_transformIddPNS_17CUDAGeneratorImplEZZZNS4_13cauchy_kernelIS7_EEvRNS_18TensorIteratorBaseEddT_ENKUlvE_clEvENKUlvE_clEvEUldE_EEvSA_T1_T2_EUlP25hiprandStatePhilox4_32_10E_ZNS1_27distribution_nullary_kernelIdd15HIP_vector_typeIdLj2EES7_SJ_SE_EEvSA_SG_RKT3_T4_EUlidE0_EEvlNS_15PhiloxCudaStateESF_SG_,comdat
.Lfunc_end1:
	.size	_ZN2at6native12_GLOBAL__N_143distribution_elementwise_grid_stride_kernelIdLi2EZNS0_9templates4cuda21uniform_and_transformIddPNS_17CUDAGeneratorImplEZZZNS4_13cauchy_kernelIS7_EEvRNS_18TensorIteratorBaseEddT_ENKUlvE_clEvENKUlvE_clEvEUldE_EEvSA_T1_T2_EUlP25hiprandStatePhilox4_32_10E_ZNS1_27distribution_nullary_kernelIdd15HIP_vector_typeIdLj2EES7_SJ_SE_EEvSA_SG_RKT3_T4_EUlidE0_EEvlNS_15PhiloxCudaStateESF_SG_, .Lfunc_end1-_ZN2at6native12_GLOBAL__N_143distribution_elementwise_grid_stride_kernelIdLi2EZNS0_9templates4cuda21uniform_and_transformIddPNS_17CUDAGeneratorImplEZZZNS4_13cauchy_kernelIS7_EEvRNS_18TensorIteratorBaseEddT_ENKUlvE_clEvENKUlvE_clEvEUldE_EEvSA_T1_T2_EUlP25hiprandStatePhilox4_32_10E_ZNS1_27distribution_nullary_kernelIdd15HIP_vector_typeIdLj2EES7_SJ_SE_EEvSA_SG_RKT3_T4_EUlidE0_EEvlNS_15PhiloxCudaStateESF_SG_
                                        ; -- End function
	.section	.AMDGPU.csdata,"",@progbits
; Kernel info:
; codeLenInByte = 6084
; NumSgprs: 96
; NumVgprs: 92
; NumAgprs: 0
; TotalNumVgprs: 92
; ScratchSize: 0
; MemoryBound: 0
; FloatMode: 240
; IeeeMode: 1
; LDSByteSize: 0 bytes/workgroup (compile time only)
; SGPRBlocks: 11
; VGPRBlocks: 11
; NumSGPRsForWavesPerEU: 96
; NumVGPRsForWavesPerEU: 92
; AccumOffset: 92
; Occupancy: 5
; WaveLimiterHint : 1
; COMPUTE_PGM_RSRC2:SCRATCH_EN: 0
; COMPUTE_PGM_RSRC2:USER_SGPR: 6
; COMPUTE_PGM_RSRC2:TRAP_HANDLER: 0
; COMPUTE_PGM_RSRC2:TGID_X_EN: 1
; COMPUTE_PGM_RSRC2:TGID_Y_EN: 0
; COMPUTE_PGM_RSRC2:TGID_Z_EN: 0
; COMPUTE_PGM_RSRC2:TIDIG_COMP_CNT: 0
; COMPUTE_PGM_RSRC3_GFX90A:ACCUM_OFFSET: 22
; COMPUTE_PGM_RSRC3_GFX90A:TG_SPLIT: 0
	.section	.text._ZN2at6native12_GLOBAL__N_143distribution_elementwise_grid_stride_kernelIdLi2EZNS0_9templates4cuda21uniform_and_transformIddPNS_17CUDAGeneratorImplEZZZNS4_13cauchy_kernelIS7_EEvRNS_18TensorIteratorBaseEddT_ENKUlvE_clEvENKUlvE_clEvEUldE_EEvSA_T1_T2_EUlP25hiprandStatePhilox4_32_10E0_ZNS1_27distribution_nullary_kernelIdd15HIP_vector_typeIfLj4EES7_SJ_SE_EEvSA_SG_RKT3_T4_EUlidE_EEvlNS_15PhiloxCudaStateESF_SG_,"axG",@progbits,_ZN2at6native12_GLOBAL__N_143distribution_elementwise_grid_stride_kernelIdLi2EZNS0_9templates4cuda21uniform_and_transformIddPNS_17CUDAGeneratorImplEZZZNS4_13cauchy_kernelIS7_EEvRNS_18TensorIteratorBaseEddT_ENKUlvE_clEvENKUlvE_clEvEUldE_EEvSA_T1_T2_EUlP25hiprandStatePhilox4_32_10E0_ZNS1_27distribution_nullary_kernelIdd15HIP_vector_typeIfLj4EES7_SJ_SE_EEvSA_SG_RKT3_T4_EUlidE_EEvlNS_15PhiloxCudaStateESF_SG_,comdat
	.globl	_ZN2at6native12_GLOBAL__N_143distribution_elementwise_grid_stride_kernelIdLi2EZNS0_9templates4cuda21uniform_and_transformIddPNS_17CUDAGeneratorImplEZZZNS4_13cauchy_kernelIS7_EEvRNS_18TensorIteratorBaseEddT_ENKUlvE_clEvENKUlvE_clEvEUldE_EEvSA_T1_T2_EUlP25hiprandStatePhilox4_32_10E0_ZNS1_27distribution_nullary_kernelIdd15HIP_vector_typeIfLj4EES7_SJ_SE_EEvSA_SG_RKT3_T4_EUlidE_EEvlNS_15PhiloxCudaStateESF_SG_ ; -- Begin function _ZN2at6native12_GLOBAL__N_143distribution_elementwise_grid_stride_kernelIdLi2EZNS0_9templates4cuda21uniform_and_transformIddPNS_17CUDAGeneratorImplEZZZNS4_13cauchy_kernelIS7_EEvRNS_18TensorIteratorBaseEddT_ENKUlvE_clEvENKUlvE_clEvEUldE_EEvSA_T1_T2_EUlP25hiprandStatePhilox4_32_10E0_ZNS1_27distribution_nullary_kernelIdd15HIP_vector_typeIfLj4EES7_SJ_SE_EEvSA_SG_RKT3_T4_EUlidE_EEvlNS_15PhiloxCudaStateESF_SG_
	.p2align	8
	.type	_ZN2at6native12_GLOBAL__N_143distribution_elementwise_grid_stride_kernelIdLi2EZNS0_9templates4cuda21uniform_and_transformIddPNS_17CUDAGeneratorImplEZZZNS4_13cauchy_kernelIS7_EEvRNS_18TensorIteratorBaseEddT_ENKUlvE_clEvENKUlvE_clEvEUldE_EEvSA_T1_T2_EUlP25hiprandStatePhilox4_32_10E0_ZNS1_27distribution_nullary_kernelIdd15HIP_vector_typeIfLj4EES7_SJ_SE_EEvSA_SG_RKT3_T4_EUlidE_EEvlNS_15PhiloxCudaStateESF_SG_,@function
_ZN2at6native12_GLOBAL__N_143distribution_elementwise_grid_stride_kernelIdLi2EZNS0_9templates4cuda21uniform_and_transformIddPNS_17CUDAGeneratorImplEZZZNS4_13cauchy_kernelIS7_EEvRNS_18TensorIteratorBaseEddT_ENKUlvE_clEvENKUlvE_clEvEUldE_EEvSA_T1_T2_EUlP25hiprandStatePhilox4_32_10E0_ZNS1_27distribution_nullary_kernelIdd15HIP_vector_typeIfLj4EES7_SJ_SE_EEvSA_SG_RKT3_T4_EUlidE_EEvlNS_15PhiloxCudaStateESF_SG_: ; @_ZN2at6native12_GLOBAL__N_143distribution_elementwise_grid_stride_kernelIdLi2EZNS0_9templates4cuda21uniform_and_transformIddPNS_17CUDAGeneratorImplEZZZNS4_13cauchy_kernelIS7_EEvRNS_18TensorIteratorBaseEddT_ENKUlvE_clEvENKUlvE_clEvEUldE_EEvSA_T1_T2_EUlP25hiprandStatePhilox4_32_10E0_ZNS1_27distribution_nullary_kernelIdd15HIP_vector_typeIfLj4EES7_SJ_SE_EEvSA_SG_RKT3_T4_EUlidE_EEvlNS_15PhiloxCudaStateESF_SG_
; %bb.0:
	s_load_dword s2, s[4:5], 0x20
	s_load_dwordx2 s[0:1], s[4:5], 0x10
	s_load_dwordx4 s[8:11], s[4:5], 0x0
	s_waitcnt lgkmcnt(0)
	s_bitcmp0_b32 s2, 0
	s_mov_b32 s2, 0
	v_pk_mov_b32 v[2:3], s[0:1], s[0:1] op_sel:[0,1]
	v_pk_mov_b32 v[8:9], s[10:11], s[10:11] op_sel:[0,1]
	s_cbranch_scc1 .LBB2_2
; %bb.1:
	v_pk_mov_b32 v[2:3], s[0:1], s[0:1] op_sel:[0,1]
	flat_load_dwordx2 v[2:3], v[2:3]
	v_pk_mov_b32 v[4:5], s[10:11], s[10:11] op_sel:[0,1]
	flat_load_dwordx2 v[8:9], v[4:5]
	s_load_dwordx2 s[0:1], s[4:5], 0x18
	s_waitcnt lgkmcnt(0)
	v_mov_b32_e32 v1, s1
	s_waitcnt vmcnt(0)
	v_add_co_u32_e32 v2, vcc, s0, v2
	v_addc_co_u32_e32 v3, vcc, v3, v1, vcc
.LBB2_2:
	s_load_dword s0, s[4:5], 0x5c
	s_load_dword s16, s[4:5], 0x50
	s_waitcnt lgkmcnt(0)
	s_and_b32 s7, s0, 0xffff
	s_add_u32 s10, s8, -1
	s_mul_i32 s33, s16, s7
	s_addc_u32 s3, s9, -1
	s_lshl_b32 s44, s33, 1
	s_cmp_lg_u64 s[2:3], 0
	s_mov_b64 s[0:1], -1
	s_cbranch_scc0 .LBB2_31
; %bb.3:
	v_cvt_f32_u32_e32 v1, s44
	v_cvt_f32_ubyte0_e32 v4, 0
	s_sub_u32 s2, 0, s44
	s_subb_u32 s11, 0, 0
	v_madmk_f32 v1, v4, 0x4f800000, v1
	v_rcp_f32_e32 v1, v1
	v_mul_f32_e32 v1, 0x5f7ffffc, v1
	v_mul_f32_e32 v4, 0x2f800000, v1
	v_trunc_f32_e32 v4, v4
	v_madmk_f32 v1, v4, 0xcf800000, v1
	v_cvt_u32_f32_e32 v4, v4
	v_cvt_u32_f32_e32 v1, v1
	v_readfirstlane_b32 s12, v4
	v_readfirstlane_b32 s13, v1
	s_mul_i32 s14, s2, s12
	s_mul_hi_u32 s17, s2, s13
	s_mul_i32 s15, s11, s13
	s_add_i32 s14, s17, s14
	s_add_i32 s14, s14, s15
	s_mul_i32 s18, s2, s13
	s_mul_hi_u32 s15, s13, s14
	s_mul_i32 s17, s13, s14
	s_mul_hi_u32 s13, s13, s18
	s_add_u32 s13, s13, s17
	s_addc_u32 s15, 0, s15
	s_mul_hi_u32 s19, s12, s18
	s_mul_i32 s18, s12, s18
	s_add_u32 s13, s13, s18
	s_mul_hi_u32 s17, s12, s14
	s_addc_u32 s13, s15, s19
	s_addc_u32 s15, s17, 0
	s_mul_i32 s14, s12, s14
	s_add_u32 s13, s13, s14
	s_addc_u32 s14, 0, s15
	v_add_co_u32_e32 v1, vcc, s13, v1
	s_cmp_lg_u64 vcc, 0
	s_addc_u32 s12, s12, s14
	v_readfirstlane_b32 s14, v1
	s_mul_i32 s13, s2, s12
	s_mul_hi_u32 s15, s2, s14
	s_add_i32 s13, s15, s13
	s_mul_i32 s11, s11, s14
	s_add_i32 s13, s13, s11
	s_mul_i32 s2, s2, s14
	s_mul_hi_u32 s15, s12, s2
	s_mul_i32 s17, s12, s2
	s_mul_i32 s19, s14, s13
	s_mul_hi_u32 s2, s14, s2
	s_mul_hi_u32 s18, s14, s13
	s_add_u32 s2, s2, s19
	s_addc_u32 s14, 0, s18
	s_add_u32 s2, s2, s17
	s_mul_hi_u32 s11, s12, s13
	s_addc_u32 s2, s14, s15
	s_addc_u32 s11, s11, 0
	s_mul_i32 s13, s12, s13
	s_add_u32 s2, s2, s13
	s_addc_u32 s11, 0, s11
	v_add_co_u32_e32 v1, vcc, s2, v1
	s_cmp_lg_u64 vcc, 0
	s_addc_u32 s11, s12, s11
	s_ashr_i32 s12, s3, 31
	s_add_u32 s2, s10, s12
	s_mov_b32 s13, s12
	s_addc_u32 s3, s3, s12
	s_xor_b64 s[2:3], s[2:3], s[12:13]
	v_readfirstlane_b32 s17, v1
	s_mul_i32 s15, s2, s11
	s_mul_hi_u32 s18, s2, s17
	s_mul_hi_u32 s14, s2, s11
	s_add_u32 s15, s18, s15
	s_addc_u32 s14, 0, s14
	s_mul_hi_u32 s19, s3, s17
	s_mul_i32 s17, s3, s17
	s_add_u32 s15, s15, s17
	s_mul_hi_u32 s18, s3, s11
	s_addc_u32 s14, s14, s19
	s_addc_u32 s15, s18, 0
	s_mul_i32 s11, s3, s11
	s_add_u32 s11, s14, s11
	s_addc_u32 s14, 0, s15
	s_add_u32 s15, s11, 1
	s_addc_u32 s17, s14, 0
	s_add_u32 s18, s11, 2
	s_mul_i32 s20, s44, s14
	s_mul_hi_u32 s21, s44, s11
	s_addc_u32 s19, s14, 0
	s_add_i32 s21, s21, s20
	s_mul_i32 s20, s44, s11
	v_mov_b32_e32 v1, s20
	v_sub_co_u32_e32 v1, vcc, s2, v1
	s_cmp_lg_u64 vcc, 0
	s_subb_u32 s2, s3, s21
	v_subrev_co_u32_e32 v4, vcc, s44, v1
	s_cmp_lg_u64 vcc, 0
	s_subb_u32 s3, s2, 0
	v_readfirstlane_b32 s20, v4
	s_cmp_ge_u32 s20, s44
	s_cselect_b32 s20, -1, 0
	s_cmp_eq_u32 s3, 0
	s_cselect_b32 s3, s20, -1
	s_cmp_lg_u32 s3, 0
	s_cselect_b32 s3, s19, s17
	v_readfirstlane_b32 s17, v1
	s_cselect_b32 s15, s18, s15
	s_cmp_ge_u32 s17, s44
	s_cselect_b32 s17, -1, 0
	s_cmp_eq_u32 s2, 0
	s_cselect_b32 s2, s17, -1
	s_cmp_lg_u32 s2, 0
	s_cselect_b32 s3, s3, s14
	s_cselect_b32 s2, s15, s11
	s_xor_b64 s[2:3], s[2:3], s[12:13]
	s_sub_u32 s2, s2, s12
	s_subb_u32 s3, s3, s12
	s_cbranch_execnz .LBB2_5
.LBB2_4:
	v_cvt_f32_u32_e32 v1, s44
	s_sub_i32 s0, 0, s44
	s_mov_b32 s3, 0
	v_rcp_iflag_f32_e32 v1, v1
	v_mul_f32_e32 v1, 0x4f7ffffe, v1
	v_cvt_u32_f32_e32 v1, v1
	v_readfirstlane_b32 s1, v1
	s_mul_i32 s0, s0, s1
	s_mul_hi_u32 s0, s1, s0
	s_add_i32 s1, s1, s0
	s_mul_hi_u32 s0, s10, s1
	s_mul_i32 s2, s0, s44
	s_sub_i32 s2, s10, s2
	s_add_i32 s1, s0, 1
	s_sub_i32 s10, s2, s44
	s_cmp_ge_u32 s2, s44
	s_cselect_b32 s0, s1, s0
	s_cselect_b32 s2, s10, s2
	s_add_i32 s1, s0, 1
	s_cmp_ge_u32 s2, s44
	s_cselect_b32 s2, s1, s0
.LBB2_5:
	v_mov_b32_e32 v10, 0
	v_mov_b32_e32 v1, v10
	v_mov_b32_e32 v4, s6
	v_mad_u64_u32 v[12:13], s[0:1], s7, v4, v[0:1]
	s_add_u32 s0, s2, 1
	s_addc_u32 s1, s3, 0
	s_mul_hi_u32 s2, s16, s7
	s_mul_i32 s1, s33, s1
	s_mul_hi_u32 s3, s33, s0
	s_add_i32 s1, s3, s1
	s_mul_i32 s2, s2, s0
	s_add_i32 s1, s1, s2
	s_mul_i32 s0, s33, s0
	s_lshl_b64 s[2:3], s[0:1], 1
	v_cmp_gt_i64_e32 vcc, s[2:3], v[12:13]
	s_and_saveexec_b64 s[0:1], vcc
	s_cbranch_execz .LBB2_30
; %bb.6:
	v_mov_b32_e32 v4, v9
	s_mov_b32 s0, 0xdb3d7428
	v_add_co_u32_e32 v49, vcc, s0, v4
	s_mov_b32 s0, 0x5384540f
	v_add_co_u32_e32 v50, vcc, s0, v8
	;; [unrolled: 2-line block ×7, first 2 shown]
	s_mov_b32 s0, 0x9e3779b9
	v_alignbit_b32 v57, v3, v2, 2
	s_mov_b32 s46, 0xd2511f53
	v_add_co_u32_e32 v56, vcc, s0, v8
	v_mad_u64_u32 v[6:7], s[0:1], v57, s46, 0
	v_xor_b32_e32 v1, v7, v9
	v_xor_b32_e32 v1, v1, v13
	s_mov_b32 s47, 0xcd9e8d57
	v_mad_u64_u32 v[14:15], s[0:1], v1, s47, 0
	v_xor_b32_e32 v1, v56, v15
	v_mad_u64_u32 v[16:17], s[0:1], v12, s47, 0
	v_and_b32_e32 v46, 3, v2
	v_xor_b32_e32 v1, v1, v16
	v_xor_b32_e32 v2, v8, v17
	v_lshrrev_b32_e32 v58, 2, v3
	v_mad_u64_u32 v[18:19], s[0:1], v1, s46, 0
	v_xor_b32_e32 v2, v2, v58
	v_xor_b32_e32 v1, v55, v19
	v_mad_u64_u32 v[2:3], s[0:1], v2, s46, 0
	v_xor_b32_e32 v1, v1, v2
	v_mad_u64_u32 v[16:17], s[0:1], v1, s47, 0
	s_mov_b32 s0, 0xbb67ae85
	v_add_co_u32_e32 v59, vcc, s0, v4
	v_xor_b32_e32 v2, v59, v3
	v_xor_b32_e32 v2, v2, v6
	v_xor_b32_e32 v1, v54, v17
	v_mad_u64_u32 v[2:3], s[0:1], v2, s47, 0
	v_xor_b32_e32 v1, v1, v2
	v_mad_u64_u32 v[6:7], s[0:1], v1, s46, 0
	s_mov_b32 s0, 0x3c6ef372
	v_add_co_u32_e32 v60, vcc, s0, v8
	v_xor_b32_e32 v2, v60, v3
	;; [unrolled: 8-line block ×7, first 2 shown]
	v_xor_b32_e32 v1, v1, v18
	v_mad_u64_u32 v[2:3], s[0:1], v1, s47, 0
	s_mov_b32 s0, 0xf1bbcdc8
	v_add_u32_e32 v47, 0x8ff34781, v8
	v_xor_b32_e32 v1, v15, v2
	v_add_co_u32_e32 v66, vcc, s0, v8
	s_load_dwordx2 s[10:11], s[4:5], 0x30
	s_load_dword s17, s[4:5], 0x38
	s_load_dwordx4 s[12:15], s[4:5], 0x40
	v_xor_b32_e32 v4, v47, v1
	v_xor_b32_e32 v1, v66, v3
	;; [unrolled: 1-line block ×3, first 2 shown]
	v_mad_u64_u32 v[2:3], s[0:1], v1, s46, 0
	v_add_u32_e32 v48, 0x96a522ad, v9
	v_xor_b32_e32 v1, v3, v6
	s_mul_i32 s0, s6, s7
	v_xor_b32_e32 v6, v48, v1
	v_add_u32_e32 v1, s0, v0
	s_waitcnt lgkmcnt(0)
	s_mul_i32 s0, s16, s17
	s_mul_i32 s0, s0, s7
	s_lshl_b32 s48, s0, 1
	s_add_i32 s0, s6, s16
	s_mul_i32 s0, s0, s7
	v_add_u32_e32 v0, s0, v0
	s_mov_b32 s45, 0
	v_mul_lo_u32 v67, s17, v1
	v_mul_lo_u32 v68, s17, v0
	s_mov_b32 s6, 0x54442d18
	s_mov_b32 s16, 0
	;; [unrolled: 1-line block ×8, first 2 shown]
	v_mov_b32_e32 v5, v14
	v_mov_b32_e32 v7, v2
	s_mov_b64 s[4:5], 0
	s_mov_b32 s7, 0x400921fb
	s_mov_b32 s17, 0x41d00000
	;; [unrolled: 1-line block ×3, first 2 shown]
	s_movk_i32 s49, 0xff80
	s_mov_b32 s21, 0x7ff00000
	s_mov_b32 s23, 0x3ff921fb
	;; [unrolled: 1-line block ×9, first 2 shown]
	s_movk_i32 s50, 0x1f8
	v_mov_b32_e32 v69, 0x40100000
	v_mov_b32_e32 v70, 0x3ff00000
	;; [unrolled: 1-line block ×29, first 2 shown]
	s_mov_b32 s51, s45
	v_mov_b32_e32 v72, v12
	v_mov_b32_e32 v73, v13
	s_branch .LBB2_9
.LBB2_7:                                ;   in Loop: Header=BB2_9 Depth=1
	s_or_b64 exec, exec, s[0:1]
	v_mul_f64 v[74:75], v[6:7], v[6:7]
	v_fma_f64 v[76:77], v[6:7], v[6:7], -v[74:75]
	v_add_f64 v[78:79], v[42:43], v[42:43]
	v_fmac_f64_e32 v[76:77], v[6:7], v[78:79]
	v_add_f64 v[74:75], v[74:75], v[76:77]
	v_pk_mov_b32 v[76:77], v[14:15], v[14:15] op_sel:[0,1]
	v_fmac_f64_e32 v[76:77], s[38:39], v[74:75]
	v_pk_mov_b32 v[78:79], v[16:17], v[16:17] op_sel:[0,1]
	v_fmac_f64_e32 v[78:79], v[74:75], v[76:77]
	;; [unrolled: 2-line block ×13, first 2 shown]
	v_mul_f64 v[74:75], v[74:75], v[76:77]
	v_mul_f64 v[76:77], v[6:7], v[74:75]
	v_add_f64 v[78:79], v[6:7], v[76:77]
	v_fma_f64 v[74:75], v[6:7], v[74:75], -v[76:77]
	v_add_f64 v[6:7], v[78:79], -v[6:7]
	v_add_f64 v[6:7], v[76:77], -v[6:7]
	v_add_f64 v[42:43], v[42:43], v[74:75]
	v_add_f64 v[6:7], v[42:43], v[6:7]
	;; [unrolled: 1-line block ×3, first 2 shown]
	v_rcp_f64_e32 v[74:75], v[42:43]
	v_add_f64 v[76:77], v[42:43], -v[78:79]
	v_add_f64 v[6:7], v[6:7], -v[76:77]
	v_add_u32_e32 v11, s51, v68
	v_fma_f64 v[76:77], -v[42:43], v[74:75], 1.0
	v_fmac_f64_e32 v[74:75], v[76:77], v[74:75]
	v_fma_f64 v[76:77], -v[42:43], v[74:75], 1.0
	v_fmac_f64_e32 v[74:75], v[76:77], v[74:75]
	v_mul_f64 v[76:77], v[42:43], v[74:75]
	v_fma_f64 v[78:79], v[74:75], v[42:43], -v[76:77]
	v_fmac_f64_e32 v[78:79], v[74:75], v[6:7]
	v_add_f64 v[6:7], v[76:77], v[78:79]
	v_add_f64 v[80:81], -v[6:7], 1.0
	v_add_f64 v[76:77], v[6:7], -v[76:77]
	v_add_f64 v[82:83], -v[80:81], 1.0
	v_add_f64 v[6:7], v[82:83], -v[6:7]
	v_add_f64 v[76:77], v[76:77], -v[78:79]
	v_add_f64 v[6:7], v[76:77], v[6:7]
	v_add_f64 v[6:7], v[80:81], v[6:7]
	v_ashrrev_i32_e32 v41, 31, v11
	v_mov_b32_e32 v45, s11
	v_add_co_u32_e32 v44, vcc, s10, v11
	v_mul_f64 v[6:7], v[74:75], v[6:7]
	v_addc_co_u32_e32 v45, vcc, v45, v41, vcc
	v_and_b32_e32 v3, 1, v3
	v_add_f64 v[6:7], v[74:75], v[6:7]
	v_xor_b32_e32 v7, 0x80000000, v7
	v_cmp_eq_u32_e32 vcc, 0, v3
	v_cndmask_b32_e32 v3, v6, v42, vcc
	v_cndmask_b32_e32 v6, v7, v43, vcc
	v_and_b32_e32 v7, 0x80000000, v5
	v_xor_b32_e32 v6, v6, v7
	v_cmp_class_f64_e64 vcc, v[4:5], s50
	v_cndmask_b32_e32 v4, 0, v3, vcc
	v_cndmask_b32_e32 v5, v71, v6, vcc
	v_pk_mov_b32 v[6:7], s[12:13], s[12:13] op_sel:[0,1]
	v_fma_f64 v[4:5], s[14:15], v[4:5], v[6:7]
	global_store_dwordx2 v[44:45], v[4:5], off
.LBB2_8:                                ;   in Loop: Header=BB2_9 Depth=1
	s_or_b64 exec, exec, s[40:41]
	v_add_co_u32_e32 v12, vcc, s44, v12
	v_mov_b32_e32 v3, v40
	v_addc_co_u32_e32 v13, vcc, 0, v13, vcc
	s_add_i32 s51, s51, s48
	v_cmp_le_i64_e32 vcc, s[2:3], v[12:13]
	v_pk_mov_b32 v[6:7], v[2:3], v[2:3] op_sel:[0,1]
	s_or_b64 s[4:5], vcc, s[4:5]
	v_pk_mov_b32 v[4:5], v[0:1], v[0:1] op_sel:[0,1]
	s_barrier
	s_andn2_b64 exec, exec, s[4:5]
	s_cbranch_execz .LBB2_30
.LBB2_9:                                ; =>This Inner Loop Header: Depth=1
	v_add_co_u32_e32 v57, vcc, 1, v57
	v_cndmask_b32_e64 v0, 0, 1, vcc
	v_addc_co_u32_e32 v58, vcc, 0, v58, vcc
	v_cmp_eq_u32_e32 vcc, 0, v58
	v_cndmask_b32_e32 v0, 0, v0, vcc
	v_add_u32_e32 v72, v0, v72
	v_cmp_eq_u32_e32 vcc, 0, v72
	v_cndmask_b32_e32 v0, 0, v0, vcc
	v_add_u32_e32 v73, v0, v73
	v_mad_u64_u32 v[0:1], s[0:1], v57, s46, 0
	v_mad_u64_u32 v[2:3], s[0:1], v72, s47, 0
	v_xor_b32_e32 v1, v1, v9
	v_xor_b32_e32 v3, v3, v8
	v_xor_b32_e32 v1, v73, v1
	v_xor_b32_e32 v3, v58, v3
	v_mad_u64_u32 v[42:43], s[0:1], v1, s47, 0
	v_mad_u64_u32 v[40:41], s[0:1], v3, s46, 0
	v_xor_b32_e32 v1, v56, v43
	v_xor_b32_e32 v1, v1, v2
	v_xor_b32_e32 v2, v59, v41
	v_xor_b32_e32 v2, v2, v0
	v_mad_u64_u32 v[0:1], s[0:1], v1, s46, 0
	v_mad_u64_u32 v[2:3], s[0:1], v2, s47, 0
	v_xor_b32_e32 v1, v55, v1
	v_xor_b32_e32 v3, v60, v3
	v_xor_b32_e32 v1, v1, v40
	v_xor_b32_e32 v3, v3, v42
	v_mad_u64_u32 v[42:43], s[0:1], v1, s47, 0
	v_mad_u64_u32 v[40:41], s[0:1], v3, s46, 0
	v_xor_b32_e32 v1, v54, v43
	v_xor_b32_e32 v1, v1, v2
	v_xor_b32_e32 v2, v61, v41
	v_xor_b32_e32 v2, v2, v0
	v_mad_u64_u32 v[0:1], s[0:1], v1, s46, 0
	v_mad_u64_u32 v[2:3], s[0:1], v2, s47, 0
	v_xor_b32_e32 v1, v53, v1
	v_xor_b32_e32 v3, v62, v3
	v_xor_b32_e32 v1, v1, v40
	v_xor_b32_e32 v3, v3, v42
	v_mad_u64_u32 v[42:43], s[0:1], v1, s47, 0
	v_mad_u64_u32 v[40:41], s[0:1], v3, s46, 0
	v_xor_b32_e32 v1, v52, v43
	v_xor_b32_e32 v1, v1, v2
	v_xor_b32_e32 v2, v63, v41
	v_xor_b32_e32 v2, v2, v0
	v_mad_u64_u32 v[0:1], s[0:1], v1, s46, 0
	v_mad_u64_u32 v[2:3], s[0:1], v2, s47, 0
	v_xor_b32_e32 v1, v51, v1
	v_xor_b32_e32 v3, v64, v3
	v_xor_b32_e32 v1, v1, v40
	v_xor_b32_e32 v3, v3, v42
	v_mad_u64_u32 v[42:43], s[0:1], v1, s47, 0
	v_mad_u64_u32 v[40:41], s[0:1], v3, s46, 0
	v_xor_b32_e32 v1, v50, v43
	v_xor_b32_e32 v1, v1, v2
	v_xor_b32_e32 v2, v65, v41
	v_xor_b32_e32 v0, v2, v0
	v_mad_u64_u32 v[2:3], s[0:1], v1, s46, 0
	v_mad_u64_u32 v[0:1], s[0:1], v0, s47, 0
	v_xor_b32_e32 v1, v66, v1
	v_xor_b32_e32 v3, v49, v3
	v_xor_b32_e32 v1, v1, v42
	v_xor_b32_e32 v3, v3, v40
	v_mad_u64_u32 v[40:41], s[0:1], v1, s46, 0
	v_mad_u64_u32 v[42:43], s[0:1], v3, s47, 0
	v_xor_b32_e32 v0, v43, v0
	v_xor_b32_e32 v1, v41, v2
	v_xor_b32_e32 v0, v47, v0
	v_xor_b32_e32 v2, v48, v1
	v_mov_b32_e32 v1, v42
	v_cmp_lt_i32_e32 vcc, 1, v46
	s_and_saveexec_b64 s[0:1], vcc
	s_xor_b64 s[0:1], exec, s[0:1]
	s_cbranch_execnz .LBB2_12
; %bb.10:                               ;   in Loop: Header=BB2_9 Depth=1
	s_andn2_saveexec_b64 s[0:1], s[0:1]
	s_cbranch_execnz .LBB2_17
.LBB2_11:                               ;   in Loop: Header=BB2_9 Depth=1
	s_or_b64 exec, exec, s[0:1]
	v_cmp_gt_i64_e32 vcc, s[8:9], v[12:13]
	s_and_saveexec_b64 s[40:41], vcc
	s_cbranch_execnz .LBB2_20
	s_branch .LBB2_25
.LBB2_12:                               ;   in Loop: Header=BB2_9 Depth=1
	v_cmp_lt_i32_e32 vcc, 2, v46
	s_and_saveexec_b64 s[40:41], vcc
	s_xor_b64 s[40:41], exec, s[40:41]
; %bb.13:                               ;   in Loop: Header=BB2_9 Depth=1
	v_mov_b32_e32 v4, v7
	v_mov_b32_e32 v5, v0
; %bb.14:                               ;   in Loop: Header=BB2_9 Depth=1
	s_andn2_saveexec_b64 s[40:41], s[40:41]
; %bb.15:                               ;   in Loop: Header=BB2_9 Depth=1
	v_mov_b32_e32 v4, v6
	v_mov_b32_e32 v5, v7
; %bb.16:                               ;   in Loop: Header=BB2_9 Depth=1
	s_or_b64 exec, exec, s[40:41]
	s_andn2_saveexec_b64 s[0:1], s[0:1]
	s_cbranch_execz .LBB2_11
.LBB2_17:                               ;   in Loop: Header=BB2_9 Depth=1
	v_cmp_eq_u32_e32 vcc, 1, v46
	s_and_saveexec_b64 s[40:41], vcc
; %bb.18:                               ;   in Loop: Header=BB2_9 Depth=1
	v_mov_b32_e32 v4, v5
	v_mov_b32_e32 v5, v6
; %bb.19:                               ;   in Loop: Header=BB2_9 Depth=1
	s_or_b64 exec, exec, s[40:41]
	s_or_b64 exec, exec, s[0:1]
	v_cmp_gt_i64_e32 vcc, s[8:9], v[12:13]
	s_and_saveexec_b64 s[40:41], vcc
	s_cbranch_execz .LBB2_25
.LBB2_20:                               ;   in Loop: Header=BB2_9 Depth=1
	v_cvt_f32_u32_e32 v3, v4
	v_mov_b32_e32 v4, 0x2f800000
                                        ; implicit-def: $vgpr42_vgpr43
                                        ; implicit-def: $vgpr44_vgpr45
	v_fmac_f32_e32 v4, 0x2f800000, v3
	v_cvt_f64_f32_e32 v[6:7], v4
	v_add_f64 v[6:7], v[6:7], -0.5
	v_mul_f64 v[6:7], v[6:7], s[6:7]
	v_cmp_nlt_f64_e64 s[0:1], |v[6:7]|, s[16:17]
                                        ; implicit-def: $vgpr3
	s_and_saveexec_b64 s[42:43], s[0:1]
	s_xor_b64 s[42:43], exec, s[42:43]
	s_cbranch_execz .LBB2_22
; %bb.21:                               ;   in Loop: Header=BB2_9 Depth=1
	v_and_b32_e32 v3, 0x7fffffff, v7
	v_ldexp_f64 v[74:75], |v[6:7]|, s49
	v_cmp_ge_f64_e64 vcc, |v[6:7]|, s[18:19]
	v_trig_preop_f64 v[42:43], |v[6:7]|, 0
	v_cndmask_b32_e32 v75, v3, v75, vcc
	v_cndmask_b32_e32 v74, v6, v74, vcc
	v_trig_preop_f64 v[44:45], |v[6:7]|, 1
	v_mul_f64 v[78:79], v[42:43], v[74:75]
	v_mul_f64 v[76:77], v[44:45], v[74:75]
	v_fma_f64 v[42:43], v[42:43], v[74:75], -v[78:79]
	v_add_f64 v[80:81], v[76:77], v[42:43]
	v_add_f64 v[82:83], v[78:79], v[80:81]
	v_ldexp_f64 v[84:85], v[82:83], -2
	v_fract_f64_e32 v[86:87], v[84:85]
	v_cmp_neq_f64_e64 vcc, |v[84:85]|, s[20:21]
	v_cndmask_b32_e32 v85, 0, v87, vcc
	v_cndmask_b32_e32 v84, 0, v86, vcc
	v_add_f64 v[86:87], v[80:81], -v[76:77]
	v_add_f64 v[42:43], v[42:43], -v[86:87]
	;; [unrolled: 1-line block ×4, first 2 shown]
	v_fma_f64 v[44:45], v[44:45], v[74:75], -v[76:77]
	v_trig_preop_f64 v[76:77], |v[6:7]|, 2
	v_add_f64 v[42:43], v[42:43], v[86:87]
	v_mul_f64 v[86:87], v[76:77], v[74:75]
	v_add_f64 v[88:89], v[86:87], v[44:45]
	v_add_f64 v[90:91], v[88:89], v[42:43]
	v_add_f64 v[78:79], v[82:83], -v[78:79]
	v_add_f64 v[82:83], v[90:91], -v[88:89]
	;; [unrolled: 1-line block ×5, first 2 shown]
	v_add_f64 v[42:43], v[42:43], v[82:83]
	v_add_f64 v[82:83], v[88:89], -v[86:87]
	v_add_f64 v[44:45], v[44:45], -v[82:83]
	;; [unrolled: 1-line block ×4, first 2 shown]
	v_add_f64 v[44:45], v[44:45], v[82:83]
	v_add_f64 v[78:79], v[80:81], -v[78:79]
	v_add_f64 v[42:43], v[44:45], v[42:43]
	v_fma_f64 v[44:45], v[76:77], v[74:75], -v[86:87]
	v_add_f64 v[80:81], v[78:79], v[90:91]
	v_add_f64 v[42:43], v[44:45], v[42:43]
	v_ldexp_f64 v[44:45], v[84:85], 2
	v_add_f64 v[74:75], v[80:81], v[44:45]
	v_cmp_gt_f64_e32 vcc, 0, v[74:75]
	v_cndmask_b32_e32 v11, 0, v69, vcc
	v_add_f64 v[44:45], v[44:45], v[10:11]
	v_add_f64 v[74:75], v[80:81], v[44:45]
	v_cvt_i32_f64_e32 v3, v[74:75]
	v_cvt_f64_i32_e32 v[74:75], v3
	v_add_f64 v[44:45], v[44:45], -v[74:75]
	v_add_f64 v[78:79], v[80:81], -v[78:79]
	v_add_f64 v[74:75], v[80:81], v[44:45]
	v_add_f64 v[78:79], v[90:91], -v[78:79]
	v_add_f64 v[44:45], v[74:75], -v[44:45]
	v_cmp_le_f64_e32 vcc, 0.5, v[74:75]
	v_add_f64 v[42:43], v[78:79], v[42:43]
	v_add_f64 v[44:45], v[80:81], -v[44:45]
	v_cndmask_b32_e32 v11, 0, v70, vcc
	v_add_f64 v[42:43], v[42:43], v[44:45]
	v_add_f64 v[44:45], v[74:75], -v[10:11]
	v_add_f64 v[74:75], v[44:45], v[42:43]
	v_add_f64 v[44:45], v[74:75], -v[44:45]
	s_mov_b32 s22, s6
	v_add_f64 v[42:43], v[42:43], -v[44:45]
	v_mul_f64 v[44:45], v[74:75], s[22:23]
	v_fma_f64 v[76:77], v[74:75], s[22:23], -v[44:45]
	s_mov_b32 s27, s25
	v_fmac_f64_e32 v[76:77], s[26:27], v[74:75]
	v_fmac_f64_e32 v[76:77], s[22:23], v[42:43]
	v_add_f64 v[42:43], v[44:45], v[76:77]
	v_add_f64 v[44:45], v[42:43], -v[44:45]
	v_addc_co_u32_e64 v3, s[0:1], 0, v3, vcc
	v_add_f64 v[44:45], v[76:77], -v[44:45]
.LBB2_22:                               ;   in Loop: Header=BB2_9 Depth=1
	s_andn2_saveexec_b64 s[0:1], s[42:43]
	s_cbranch_execz .LBB2_24
; %bb.23:                               ;   in Loop: Header=BB2_9 Depth=1
	v_mul_f64 v[42:43], |v[6:7]|, s[28:29]
	v_rndne_f64_e32 v[74:75], v[42:43]
	s_mov_b32 s30, s6
	v_fma_f64 v[42:43], v[74:75], s[30:31], |v[6:7]|
	v_mul_f64 v[76:77], v[74:75], s[34:35]
	v_add_f64 v[80:81], v[42:43], v[76:77]
	v_fma_f64 v[44:45], s[34:35], v[74:75], v[42:43]
	s_mov_b32 s24, s34
	v_add_f64 v[42:43], v[42:43], -v[80:81]
	v_fma_f64 v[78:79], s[24:25], v[74:75], v[76:77]
	v_add_f64 v[42:43], v[42:43], v[76:77]
	v_add_f64 v[76:77], v[80:81], -v[44:45]
	v_add_f64 v[42:43], v[76:77], v[42:43]
	v_add_f64 v[76:77], v[42:43], -v[78:79]
	v_fmac_f64_e32 v[76:77], s[36:37], v[74:75]
	v_add_f64 v[42:43], v[44:45], v[76:77]
	v_add_f64 v[44:45], v[42:43], -v[44:45]
	v_add_f64 v[44:45], v[76:77], -v[44:45]
	v_cvt_i32_f64_e32 v3, v[74:75]
.LBB2_24:                               ;   in Loop: Header=BB2_9 Depth=1
	s_or_b64 exec, exec, s[0:1]
	v_mul_f64 v[76:77], v[42:43], v[42:43]
	v_fma_f64 v[78:79], v[42:43], v[42:43], -v[76:77]
	v_add_f64 v[80:81], v[44:45], v[44:45]
	v_fmac_f64_e32 v[78:79], v[42:43], v[80:81]
	v_add_f64 v[76:77], v[76:77], v[78:79]
	v_pk_mov_b32 v[78:79], v[14:15], v[14:15] op_sel:[0,1]
	v_fmac_f64_e32 v[78:79], s[38:39], v[76:77]
	v_pk_mov_b32 v[80:81], v[16:17], v[16:17] op_sel:[0,1]
	v_fmac_f64_e32 v[80:81], v[76:77], v[78:79]
	;; [unrolled: 2-line block ×13, first 2 shown]
	v_mul_f64 v[76:77], v[76:77], v[78:79]
	v_mul_f64 v[78:79], v[42:43], v[76:77]
	v_add_f64 v[80:81], v[42:43], v[78:79]
	v_fma_f64 v[76:77], v[42:43], v[76:77], -v[78:79]
	v_add_f64 v[42:43], v[80:81], -v[42:43]
	v_add_f64 v[42:43], v[78:79], -v[42:43]
	v_add_f64 v[44:45], v[44:45], v[76:77]
	v_add_f64 v[42:43], v[44:45], v[42:43]
	;; [unrolled: 1-line block ×3, first 2 shown]
	v_rcp_f64_e32 v[76:77], v[44:45]
	v_add_f64 v[78:79], v[44:45], -v[80:81]
	v_add_f64 v[42:43], v[42:43], -v[78:79]
	v_add_u32_e32 v4, s51, v67
	v_fma_f64 v[78:79], -v[44:45], v[76:77], 1.0
	v_fmac_f64_e32 v[76:77], v[78:79], v[76:77]
	v_fma_f64 v[78:79], -v[44:45], v[76:77], 1.0
	v_fmac_f64_e32 v[76:77], v[78:79], v[76:77]
	v_mul_f64 v[78:79], v[44:45], v[76:77]
	v_fma_f64 v[80:81], v[76:77], v[44:45], -v[78:79]
	v_fmac_f64_e32 v[80:81], v[76:77], v[42:43]
	v_add_f64 v[42:43], v[78:79], v[80:81]
	v_add_f64 v[82:83], -v[42:43], 1.0
	v_add_f64 v[78:79], v[42:43], -v[78:79]
	v_add_f64 v[84:85], -v[82:83], 1.0
	v_add_f64 v[42:43], v[84:85], -v[42:43]
	v_add_f64 v[78:79], v[78:79], -v[80:81]
	v_add_f64 v[42:43], v[78:79], v[42:43]
	v_add_f64 v[42:43], v[82:83], v[42:43]
	v_ashrrev_i32_e32 v11, 31, v4
	v_mov_b32_e32 v41, s11
	v_add_co_u32_e32 v74, vcc, s10, v4
	v_mul_f64 v[42:43], v[76:77], v[42:43]
	v_addc_co_u32_e32 v75, vcc, v41, v11, vcc
	v_and_b32_e32 v3, 1, v3
	v_add_f64 v[42:43], v[76:77], v[42:43]
	v_xor_b32_e32 v4, 0x80000000, v43
	v_cmp_eq_u32_e32 vcc, 0, v3
	v_cndmask_b32_e32 v4, v4, v45, vcc
	v_and_b32_e32 v11, 0x80000000, v7
	v_cndmask_b32_e32 v3, v42, v44, vcc
	v_xor_b32_e32 v4, v4, v11
	v_cmp_class_f64_e64 vcc, v[6:7], s50
	v_cndmask_b32_e32 v6, 0, v3, vcc
	v_cndmask_b32_e32 v7, v71, v4, vcc
	v_pk_mov_b32 v[42:43], s[12:13], s[12:13] op_sel:[0,1]
	v_fma_f64 v[6:7], s[14:15], v[6:7], v[42:43]
	global_store_dwordx2 v[74:75], v[6:7], off
.LBB2_25:                               ;   in Loop: Header=BB2_9 Depth=1
	s_or_b64 exec, exec, s[40:41]
	v_mov_b32_e32 v3, s45
	v_add_co_u32_e32 v6, vcc, s33, v12
	v_addc_co_u32_e32 v7, vcc, v3, v13, vcc
	v_cmp_gt_i64_e32 vcc, s[8:9], v[6:7]
	s_and_saveexec_b64 s[40:41], vcc
	s_cbranch_execz .LBB2_8
; %bb.26:                               ;   in Loop: Header=BB2_9 Depth=1
	v_cvt_f32_u32_e32 v3, v5
	v_mov_b32_e32 v4, 0x2f800000
                                        ; implicit-def: $vgpr6_vgpr7
                                        ; implicit-def: $vgpr42_vgpr43
	v_fmac_f32_e32 v4, 0x2f800000, v3
	v_cvt_f64_f32_e32 v[4:5], v4
	v_add_f64 v[4:5], v[4:5], -0.5
	v_mul_f64 v[4:5], v[4:5], s[6:7]
	v_cmp_nlt_f64_e64 s[0:1], |v[4:5]|, s[16:17]
                                        ; implicit-def: $vgpr3
	s_and_saveexec_b64 s[42:43], s[0:1]
	s_xor_b64 s[42:43], exec, s[42:43]
	s_cbranch_execz .LBB2_28
; %bb.27:                               ;   in Loop: Header=BB2_9 Depth=1
	v_and_b32_e32 v3, 0x7fffffff, v5
	v_ldexp_f64 v[44:45], |v[4:5]|, s49
	v_cmp_ge_f64_e64 vcc, |v[4:5]|, s[18:19]
	v_trig_preop_f64 v[6:7], |v[4:5]|, 0
	v_cndmask_b32_e32 v45, v3, v45, vcc
	v_cndmask_b32_e32 v44, v4, v44, vcc
	v_trig_preop_f64 v[42:43], |v[4:5]|, 1
	v_mul_f64 v[76:77], v[6:7], v[44:45]
	v_mul_f64 v[74:75], v[42:43], v[44:45]
	v_fma_f64 v[6:7], v[6:7], v[44:45], -v[76:77]
	v_add_f64 v[78:79], v[74:75], v[6:7]
	v_add_f64 v[80:81], v[76:77], v[78:79]
	v_ldexp_f64 v[82:83], v[80:81], -2
	v_fract_f64_e32 v[84:85], v[82:83]
	v_cmp_neq_f64_e64 vcc, |v[82:83]|, s[20:21]
	v_cndmask_b32_e32 v83, 0, v85, vcc
	v_cndmask_b32_e32 v82, 0, v84, vcc
	v_add_f64 v[84:85], v[78:79], -v[74:75]
	v_add_f64 v[6:7], v[6:7], -v[84:85]
	;; [unrolled: 1-line block ×4, first 2 shown]
	v_fma_f64 v[42:43], v[42:43], v[44:45], -v[74:75]
	v_trig_preop_f64 v[74:75], |v[4:5]|, 2
	v_add_f64 v[6:7], v[6:7], v[84:85]
	v_mul_f64 v[84:85], v[74:75], v[44:45]
	v_add_f64 v[86:87], v[84:85], v[42:43]
	v_add_f64 v[88:89], v[86:87], v[6:7]
	v_add_f64 v[76:77], v[80:81], -v[76:77]
	v_add_f64 v[80:81], v[88:89], -v[86:87]
	;; [unrolled: 1-line block ×5, first 2 shown]
	v_add_f64 v[6:7], v[6:7], v[80:81]
	v_add_f64 v[80:81], v[86:87], -v[84:85]
	v_add_f64 v[42:43], v[42:43], -v[80:81]
	;; [unrolled: 1-line block ×4, first 2 shown]
	v_add_f64 v[42:43], v[42:43], v[80:81]
	v_add_f64 v[76:77], v[78:79], -v[76:77]
	v_add_f64 v[6:7], v[42:43], v[6:7]
	v_fma_f64 v[42:43], v[74:75], v[44:45], -v[84:85]
	v_add_f64 v[78:79], v[76:77], v[88:89]
	v_add_f64 v[6:7], v[42:43], v[6:7]
	v_ldexp_f64 v[42:43], v[82:83], 2
	v_add_f64 v[44:45], v[78:79], v[42:43]
	v_cmp_gt_f64_e32 vcc, 0, v[44:45]
	v_cndmask_b32_e32 v11, 0, v69, vcc
	v_add_f64 v[42:43], v[42:43], v[10:11]
	v_add_f64 v[44:45], v[78:79], v[42:43]
	v_cvt_i32_f64_e32 v3, v[44:45]
	v_cvt_f64_i32_e32 v[44:45], v3
	v_add_f64 v[42:43], v[42:43], -v[44:45]
	v_add_f64 v[76:77], v[78:79], -v[76:77]
	v_add_f64 v[44:45], v[78:79], v[42:43]
	v_add_f64 v[76:77], v[88:89], -v[76:77]
	v_add_f64 v[42:43], v[44:45], -v[42:43]
	v_cmp_le_f64_e32 vcc, 0.5, v[44:45]
	v_add_f64 v[6:7], v[76:77], v[6:7]
	v_add_f64 v[42:43], v[78:79], -v[42:43]
	v_cndmask_b32_e32 v11, 0, v70, vcc
	v_add_f64 v[6:7], v[6:7], v[42:43]
	v_add_f64 v[42:43], v[44:45], -v[10:11]
	v_add_f64 v[44:45], v[42:43], v[6:7]
	v_add_f64 v[42:43], v[44:45], -v[42:43]
	s_mov_b32 s22, s6
	v_add_f64 v[6:7], v[6:7], -v[42:43]
	v_mul_f64 v[42:43], v[44:45], s[22:23]
	v_fma_f64 v[74:75], v[44:45], s[22:23], -v[42:43]
	s_mov_b32 s27, s25
	v_fmac_f64_e32 v[74:75], s[26:27], v[44:45]
	v_fmac_f64_e32 v[74:75], s[22:23], v[6:7]
	v_add_f64 v[6:7], v[42:43], v[74:75]
	v_add_f64 v[42:43], v[6:7], -v[42:43]
	v_addc_co_u32_e64 v3, s[0:1], 0, v3, vcc
	v_add_f64 v[42:43], v[74:75], -v[42:43]
.LBB2_28:                               ;   in Loop: Header=BB2_9 Depth=1
	s_andn2_saveexec_b64 s[0:1], s[42:43]
	s_cbranch_execz .LBB2_7
; %bb.29:                               ;   in Loop: Header=BB2_9 Depth=1
	v_mul_f64 v[6:7], |v[4:5]|, s[28:29]
	v_rndne_f64_e32 v[44:45], v[6:7]
	s_mov_b32 s30, s6
	v_fma_f64 v[6:7], v[44:45], s[30:31], |v[4:5]|
	v_mul_f64 v[74:75], v[44:45], s[34:35]
	v_add_f64 v[78:79], v[6:7], v[74:75]
	v_fma_f64 v[42:43], s[34:35], v[44:45], v[6:7]
	s_mov_b32 s24, s34
	v_add_f64 v[6:7], v[6:7], -v[78:79]
	v_fma_f64 v[76:77], s[24:25], v[44:45], v[74:75]
	v_add_f64 v[6:7], v[6:7], v[74:75]
	v_add_f64 v[74:75], v[78:79], -v[42:43]
	v_add_f64 v[6:7], v[74:75], v[6:7]
	v_add_f64 v[74:75], v[6:7], -v[76:77]
	v_fmac_f64_e32 v[74:75], s[36:37], v[44:45]
	v_add_f64 v[6:7], v[42:43], v[74:75]
	v_add_f64 v[42:43], v[6:7], -v[42:43]
	v_add_f64 v[42:43], v[74:75], -v[42:43]
	v_cvt_i32_f64_e32 v3, v[44:45]
	s_branch .LBB2_7
.LBB2_30:
	s_endpgm
.LBB2_31:
                                        ; implicit-def: $sgpr2_sgpr3
	s_andn2_b64 vcc, exec, s[0:1]
	s_cbranch_vccz .LBB2_4
	s_branch .LBB2_5
	.section	.rodata,"a",@progbits
	.p2align	6, 0x0
	.amdhsa_kernel _ZN2at6native12_GLOBAL__N_143distribution_elementwise_grid_stride_kernelIdLi2EZNS0_9templates4cuda21uniform_and_transformIddPNS_17CUDAGeneratorImplEZZZNS4_13cauchy_kernelIS7_EEvRNS_18TensorIteratorBaseEddT_ENKUlvE_clEvENKUlvE_clEvEUldE_EEvSA_T1_T2_EUlP25hiprandStatePhilox4_32_10E0_ZNS1_27distribution_nullary_kernelIdd15HIP_vector_typeIfLj4EES7_SJ_SE_EEvSA_SG_RKT3_T4_EUlidE_EEvlNS_15PhiloxCudaStateESF_SG_
		.amdhsa_group_segment_fixed_size 0
		.amdhsa_private_segment_fixed_size 0
		.amdhsa_kernarg_size 336
		.amdhsa_user_sgpr_count 6
		.amdhsa_user_sgpr_private_segment_buffer 1
		.amdhsa_user_sgpr_dispatch_ptr 0
		.amdhsa_user_sgpr_queue_ptr 0
		.amdhsa_user_sgpr_kernarg_segment_ptr 1
		.amdhsa_user_sgpr_dispatch_id 0
		.amdhsa_user_sgpr_flat_scratch_init 0
		.amdhsa_user_sgpr_kernarg_preload_length 0
		.amdhsa_user_sgpr_kernarg_preload_offset 0
		.amdhsa_user_sgpr_private_segment_size 0
		.amdhsa_uses_dynamic_stack 0
		.amdhsa_system_sgpr_private_segment_wavefront_offset 0
		.amdhsa_system_sgpr_workgroup_id_x 1
		.amdhsa_system_sgpr_workgroup_id_y 0
		.amdhsa_system_sgpr_workgroup_id_z 0
		.amdhsa_system_sgpr_workgroup_info 0
		.amdhsa_system_vgpr_workitem_id 0
		.amdhsa_next_free_vgpr 92
		.amdhsa_next_free_sgpr 52
		.amdhsa_accum_offset 92
		.amdhsa_reserve_vcc 1
		.amdhsa_reserve_flat_scratch 0
		.amdhsa_float_round_mode_32 0
		.amdhsa_float_round_mode_16_64 0
		.amdhsa_float_denorm_mode_32 3
		.amdhsa_float_denorm_mode_16_64 3
		.amdhsa_dx10_clamp 1
		.amdhsa_ieee_mode 1
		.amdhsa_fp16_overflow 0
		.amdhsa_tg_split 0
		.amdhsa_exception_fp_ieee_invalid_op 0
		.amdhsa_exception_fp_denorm_src 0
		.amdhsa_exception_fp_ieee_div_zero 0
		.amdhsa_exception_fp_ieee_overflow 0
		.amdhsa_exception_fp_ieee_underflow 0
		.amdhsa_exception_fp_ieee_inexact 0
		.amdhsa_exception_int_div_zero 0
	.end_amdhsa_kernel
	.section	.text._ZN2at6native12_GLOBAL__N_143distribution_elementwise_grid_stride_kernelIdLi2EZNS0_9templates4cuda21uniform_and_transformIddPNS_17CUDAGeneratorImplEZZZNS4_13cauchy_kernelIS7_EEvRNS_18TensorIteratorBaseEddT_ENKUlvE_clEvENKUlvE_clEvEUldE_EEvSA_T1_T2_EUlP25hiprandStatePhilox4_32_10E0_ZNS1_27distribution_nullary_kernelIdd15HIP_vector_typeIfLj4EES7_SJ_SE_EEvSA_SG_RKT3_T4_EUlidE_EEvlNS_15PhiloxCudaStateESF_SG_,"axG",@progbits,_ZN2at6native12_GLOBAL__N_143distribution_elementwise_grid_stride_kernelIdLi2EZNS0_9templates4cuda21uniform_and_transformIddPNS_17CUDAGeneratorImplEZZZNS4_13cauchy_kernelIS7_EEvRNS_18TensorIteratorBaseEddT_ENKUlvE_clEvENKUlvE_clEvEUldE_EEvSA_T1_T2_EUlP25hiprandStatePhilox4_32_10E0_ZNS1_27distribution_nullary_kernelIdd15HIP_vector_typeIfLj4EES7_SJ_SE_EEvSA_SG_RKT3_T4_EUlidE_EEvlNS_15PhiloxCudaStateESF_SG_,comdat
.Lfunc_end2:
	.size	_ZN2at6native12_GLOBAL__N_143distribution_elementwise_grid_stride_kernelIdLi2EZNS0_9templates4cuda21uniform_and_transformIddPNS_17CUDAGeneratorImplEZZZNS4_13cauchy_kernelIS7_EEvRNS_18TensorIteratorBaseEddT_ENKUlvE_clEvENKUlvE_clEvEUldE_EEvSA_T1_T2_EUlP25hiprandStatePhilox4_32_10E0_ZNS1_27distribution_nullary_kernelIdd15HIP_vector_typeIfLj4EES7_SJ_SE_EEvSA_SG_RKT3_T4_EUlidE_EEvlNS_15PhiloxCudaStateESF_SG_, .Lfunc_end2-_ZN2at6native12_GLOBAL__N_143distribution_elementwise_grid_stride_kernelIdLi2EZNS0_9templates4cuda21uniform_and_transformIddPNS_17CUDAGeneratorImplEZZZNS4_13cauchy_kernelIS7_EEvRNS_18TensorIteratorBaseEddT_ENKUlvE_clEvENKUlvE_clEvEUldE_EEvSA_T1_T2_EUlP25hiprandStatePhilox4_32_10E0_ZNS1_27distribution_nullary_kernelIdd15HIP_vector_typeIfLj4EES7_SJ_SE_EEvSA_SG_RKT3_T4_EUlidE_EEvlNS_15PhiloxCudaStateESF_SG_
                                        ; -- End function
	.section	.AMDGPU.csdata,"",@progbits
; Kernel info:
; codeLenInByte = 4968
; NumSgprs: 56
; NumVgprs: 92
; NumAgprs: 0
; TotalNumVgprs: 92
; ScratchSize: 0
; MemoryBound: 0
; FloatMode: 240
; IeeeMode: 1
; LDSByteSize: 0 bytes/workgroup (compile time only)
; SGPRBlocks: 6
; VGPRBlocks: 11
; NumSGPRsForWavesPerEU: 56
; NumVGPRsForWavesPerEU: 92
; AccumOffset: 92
; Occupancy: 5
; WaveLimiterHint : 0
; COMPUTE_PGM_RSRC2:SCRATCH_EN: 0
; COMPUTE_PGM_RSRC2:USER_SGPR: 6
; COMPUTE_PGM_RSRC2:TRAP_HANDLER: 0
; COMPUTE_PGM_RSRC2:TGID_X_EN: 1
; COMPUTE_PGM_RSRC2:TGID_Y_EN: 0
; COMPUTE_PGM_RSRC2:TGID_Z_EN: 0
; COMPUTE_PGM_RSRC2:TIDIG_COMP_CNT: 0
; COMPUTE_PGM_RSRC3_GFX90A:ACCUM_OFFSET: 22
; COMPUTE_PGM_RSRC3_GFX90A:TG_SPLIT: 0
	.section	.text._ZN2at6native12_GLOBAL__N_143distribution_elementwise_grid_stride_kernelIdLi2EZNS0_9templates4cuda21uniform_and_transformIddPNS_17CUDAGeneratorImplEZZZNS4_13cauchy_kernelIS7_EEvRNS_18TensorIteratorBaseEddT_ENKUlvE_clEvENKUlvE_clEvEUldE_EEvSA_T1_T2_EUlP25hiprandStatePhilox4_32_10E0_ZNS1_27distribution_nullary_kernelIdd15HIP_vector_typeIfLj4EES7_SJ_SE_EEvSA_SG_RKT3_T4_EUlidE0_EEvlNS_15PhiloxCudaStateESF_SG_,"axG",@progbits,_ZN2at6native12_GLOBAL__N_143distribution_elementwise_grid_stride_kernelIdLi2EZNS0_9templates4cuda21uniform_and_transformIddPNS_17CUDAGeneratorImplEZZZNS4_13cauchy_kernelIS7_EEvRNS_18TensorIteratorBaseEddT_ENKUlvE_clEvENKUlvE_clEvEUldE_EEvSA_T1_T2_EUlP25hiprandStatePhilox4_32_10E0_ZNS1_27distribution_nullary_kernelIdd15HIP_vector_typeIfLj4EES7_SJ_SE_EEvSA_SG_RKT3_T4_EUlidE0_EEvlNS_15PhiloxCudaStateESF_SG_,comdat
	.globl	_ZN2at6native12_GLOBAL__N_143distribution_elementwise_grid_stride_kernelIdLi2EZNS0_9templates4cuda21uniform_and_transformIddPNS_17CUDAGeneratorImplEZZZNS4_13cauchy_kernelIS7_EEvRNS_18TensorIteratorBaseEddT_ENKUlvE_clEvENKUlvE_clEvEUldE_EEvSA_T1_T2_EUlP25hiprandStatePhilox4_32_10E0_ZNS1_27distribution_nullary_kernelIdd15HIP_vector_typeIfLj4EES7_SJ_SE_EEvSA_SG_RKT3_T4_EUlidE0_EEvlNS_15PhiloxCudaStateESF_SG_ ; -- Begin function _ZN2at6native12_GLOBAL__N_143distribution_elementwise_grid_stride_kernelIdLi2EZNS0_9templates4cuda21uniform_and_transformIddPNS_17CUDAGeneratorImplEZZZNS4_13cauchy_kernelIS7_EEvRNS_18TensorIteratorBaseEddT_ENKUlvE_clEvENKUlvE_clEvEUldE_EEvSA_T1_T2_EUlP25hiprandStatePhilox4_32_10E0_ZNS1_27distribution_nullary_kernelIdd15HIP_vector_typeIfLj4EES7_SJ_SE_EEvSA_SG_RKT3_T4_EUlidE0_EEvlNS_15PhiloxCudaStateESF_SG_
	.p2align	8
	.type	_ZN2at6native12_GLOBAL__N_143distribution_elementwise_grid_stride_kernelIdLi2EZNS0_9templates4cuda21uniform_and_transformIddPNS_17CUDAGeneratorImplEZZZNS4_13cauchy_kernelIS7_EEvRNS_18TensorIteratorBaseEddT_ENKUlvE_clEvENKUlvE_clEvEUldE_EEvSA_T1_T2_EUlP25hiprandStatePhilox4_32_10E0_ZNS1_27distribution_nullary_kernelIdd15HIP_vector_typeIfLj4EES7_SJ_SE_EEvSA_SG_RKT3_T4_EUlidE0_EEvlNS_15PhiloxCudaStateESF_SG_,@function
_ZN2at6native12_GLOBAL__N_143distribution_elementwise_grid_stride_kernelIdLi2EZNS0_9templates4cuda21uniform_and_transformIddPNS_17CUDAGeneratorImplEZZZNS4_13cauchy_kernelIS7_EEvRNS_18TensorIteratorBaseEddT_ENKUlvE_clEvENKUlvE_clEvEUldE_EEvSA_T1_T2_EUlP25hiprandStatePhilox4_32_10E0_ZNS1_27distribution_nullary_kernelIdd15HIP_vector_typeIfLj4EES7_SJ_SE_EEvSA_SG_RKT3_T4_EUlidE0_EEvlNS_15PhiloxCudaStateESF_SG_: ; @_ZN2at6native12_GLOBAL__N_143distribution_elementwise_grid_stride_kernelIdLi2EZNS0_9templates4cuda21uniform_and_transformIddPNS_17CUDAGeneratorImplEZZZNS4_13cauchy_kernelIS7_EEvRNS_18TensorIteratorBaseEddT_ENKUlvE_clEvENKUlvE_clEvEUldE_EEvSA_T1_T2_EUlP25hiprandStatePhilox4_32_10E0_ZNS1_27distribution_nullary_kernelIdd15HIP_vector_typeIfLj4EES7_SJ_SE_EEvSA_SG_RKT3_T4_EUlidE0_EEvlNS_15PhiloxCudaStateESF_SG_
; %bb.0:
	s_load_dword s2, s[4:5], 0x20
	s_load_dwordx2 s[0:1], s[4:5], 0x10
	s_load_dwordx4 s[24:27], s[4:5], 0x0
	s_waitcnt lgkmcnt(0)
	s_bitcmp0_b32 s2, 0
	s_mov_b32 s2, 0
	v_pk_mov_b32 v[2:3], s[0:1], s[0:1] op_sel:[0,1]
	v_pk_mov_b32 v[8:9], s[26:27], s[26:27] op_sel:[0,1]
	s_cbranch_scc1 .LBB3_2
; %bb.1:
	v_pk_mov_b32 v[2:3], s[0:1], s[0:1] op_sel:[0,1]
	flat_load_dwordx2 v[2:3], v[2:3]
	v_pk_mov_b32 v[4:5], s[26:27], s[26:27] op_sel:[0,1]
	flat_load_dwordx2 v[8:9], v[4:5]
	s_load_dwordx2 s[0:1], s[4:5], 0x18
	s_waitcnt lgkmcnt(0)
	v_mov_b32_e32 v1, s1
	s_waitcnt vmcnt(0)
	v_add_co_u32_e32 v2, vcc, s0, v2
	v_addc_co_u32_e32 v3, vcc, v3, v1, vcc
.LBB3_2:
	s_load_dword s0, s[4:5], 0x15c
	s_load_dword s7, s[4:5], 0x150
	s_waitcnt lgkmcnt(0)
	s_and_b32 s8, s0, 0xffff
	s_add_u32 s9, s24, -1
	s_mul_i32 s33, s7, s8
	s_addc_u32 s3, s25, -1
	s_lshl_b32 s86, s33, 1
	s_cmp_lg_u64 s[2:3], 0
	s_mov_b64 s[0:1], -1
	s_cbranch_scc0 .LBB3_59
; %bb.3:
	v_cvt_f32_u32_e32 v1, s86
	v_cvt_f32_ubyte0_e32 v4, 0
	s_sub_u32 s2, 0, s86
	s_subb_u32 s10, 0, 0
	v_madmk_f32 v1, v4, 0x4f800000, v1
	v_rcp_f32_e32 v1, v1
	v_mul_f32_e32 v1, 0x5f7ffffc, v1
	v_mul_f32_e32 v4, 0x2f800000, v1
	v_trunc_f32_e32 v4, v4
	v_madmk_f32 v1, v4, 0xcf800000, v1
	v_cvt_u32_f32_e32 v4, v4
	v_cvt_u32_f32_e32 v1, v1
	v_readfirstlane_b32 s11, v4
	v_readfirstlane_b32 s12, v1
	s_mul_i32 s13, s2, s11
	s_mul_hi_u32 s15, s2, s12
	s_mul_i32 s14, s10, s12
	s_add_i32 s13, s15, s13
	s_add_i32 s13, s13, s14
	s_mul_i32 s16, s2, s12
	s_mul_hi_u32 s14, s12, s13
	s_mul_i32 s15, s12, s13
	s_mul_hi_u32 s12, s12, s16
	s_add_u32 s12, s12, s15
	s_addc_u32 s14, 0, s14
	s_mul_hi_u32 s17, s11, s16
	s_mul_i32 s16, s11, s16
	s_add_u32 s12, s12, s16
	s_mul_hi_u32 s15, s11, s13
	s_addc_u32 s12, s14, s17
	s_addc_u32 s14, s15, 0
	s_mul_i32 s13, s11, s13
	s_add_u32 s12, s12, s13
	s_addc_u32 s13, 0, s14
	v_add_co_u32_e32 v1, vcc, s12, v1
	s_cmp_lg_u64 vcc, 0
	s_addc_u32 s11, s11, s13
	v_readfirstlane_b32 s13, v1
	s_mul_i32 s12, s2, s11
	s_mul_hi_u32 s14, s2, s13
	s_add_i32 s12, s14, s12
	s_mul_i32 s10, s10, s13
	s_add_i32 s12, s12, s10
	s_mul_i32 s2, s2, s13
	s_mul_hi_u32 s14, s11, s2
	s_mul_i32 s15, s11, s2
	s_mul_i32 s17, s13, s12
	s_mul_hi_u32 s2, s13, s2
	s_mul_hi_u32 s16, s13, s12
	s_add_u32 s2, s2, s17
	s_addc_u32 s13, 0, s16
	s_add_u32 s2, s2, s15
	s_mul_hi_u32 s10, s11, s12
	s_addc_u32 s2, s13, s14
	s_addc_u32 s10, s10, 0
	s_mul_i32 s12, s11, s12
	s_add_u32 s2, s2, s12
	s_addc_u32 s10, 0, s10
	v_add_co_u32_e32 v1, vcc, s2, v1
	s_cmp_lg_u64 vcc, 0
	s_addc_u32 s12, s11, s10
	s_ashr_i32 s10, s3, 31
	s_add_u32 s2, s9, s10
	s_mov_b32 s11, s10
	s_addc_u32 s3, s3, s10
	s_xor_b64 s[2:3], s[2:3], s[10:11]
	v_readfirstlane_b32 s15, v1
	s_mul_i32 s14, s2, s12
	s_mul_hi_u32 s16, s2, s15
	s_mul_hi_u32 s13, s2, s12
	s_add_u32 s14, s16, s14
	s_addc_u32 s13, 0, s13
	s_mul_hi_u32 s17, s3, s15
	s_mul_i32 s15, s3, s15
	s_add_u32 s14, s14, s15
	s_mul_hi_u32 s16, s3, s12
	s_addc_u32 s13, s13, s17
	s_addc_u32 s14, s16, 0
	s_mul_i32 s12, s3, s12
	s_add_u32 s12, s13, s12
	s_addc_u32 s13, 0, s14
	s_add_u32 s14, s12, 1
	s_addc_u32 s15, s13, 0
	s_add_u32 s16, s12, 2
	s_mul_i32 s18, s86, s13
	s_mul_hi_u32 s19, s86, s12
	s_addc_u32 s17, s13, 0
	s_add_i32 s19, s19, s18
	s_mul_i32 s18, s86, s12
	v_mov_b32_e32 v1, s18
	v_sub_co_u32_e32 v1, vcc, s2, v1
	s_cmp_lg_u64 vcc, 0
	s_subb_u32 s2, s3, s19
	v_subrev_co_u32_e32 v4, vcc, s86, v1
	s_cmp_lg_u64 vcc, 0
	s_subb_u32 s3, s2, 0
	v_readfirstlane_b32 s18, v4
	s_cmp_ge_u32 s18, s86
	s_cselect_b32 s18, -1, 0
	s_cmp_eq_u32 s3, 0
	s_cselect_b32 s3, s18, -1
	s_cmp_lg_u32 s3, 0
	s_cselect_b32 s3, s17, s15
	v_readfirstlane_b32 s15, v1
	s_cselect_b32 s14, s16, s14
	s_cmp_ge_u32 s15, s86
	s_cselect_b32 s15, -1, 0
	s_cmp_eq_u32 s2, 0
	s_cselect_b32 s2, s15, -1
	s_cmp_lg_u32 s2, 0
	s_cselect_b32 s3, s3, s13
	s_cselect_b32 s2, s14, s12
	s_xor_b64 s[2:3], s[2:3], s[10:11]
	s_sub_u32 s2, s2, s10
	s_subb_u32 s3, s3, s10
	s_cbranch_execnz .LBB3_5
.LBB3_4:
	v_cvt_f32_u32_e32 v1, s86
	s_sub_i32 s0, 0, s86
	s_mov_b32 s3, 0
	v_rcp_iflag_f32_e32 v1, v1
	v_mul_f32_e32 v1, 0x4f7ffffe, v1
	v_cvt_u32_f32_e32 v1, v1
	v_readfirstlane_b32 s1, v1
	s_mul_i32 s0, s0, s1
	s_mul_hi_u32 s0, s1, s0
	s_add_i32 s1, s1, s0
	s_mul_hi_u32 s0, s9, s1
	s_mul_i32 s2, s0, s86
	s_sub_i32 s2, s9, s2
	s_add_i32 s1, s0, 1
	s_sub_i32 s9, s2, s86
	s_cmp_ge_u32 s2, s86
	s_cselect_b32 s0, s1, s0
	s_cselect_b32 s2, s9, s2
	s_add_i32 s1, s0, 1
	s_cmp_ge_u32 s2, s86
	s_cselect_b32 s2, s1, s0
.LBB3_5:
	v_mov_b32_e32 v10, 0
	v_mov_b32_e32 v1, v10
	;; [unrolled: 1-line block ×3, first 2 shown]
	v_mad_u64_u32 v[12:13], s[0:1], s8, v4, v[0:1]
	s_add_u32 s0, s2, 1
	s_addc_u32 s1, s3, 0
	s_mul_hi_u32 s2, s7, s8
	s_mul_i32 s1, s33, s1
	s_mul_hi_u32 s3, s33, s0
	s_add_i32 s1, s3, s1
	s_mul_i32 s2, s2, s0
	s_add_i32 s1, s1, s2
	s_mul_i32 s0, s33, s0
	s_lshl_b64 s[26:27], s[0:1], 1
	v_cmp_gt_i64_e32 vcc, s[26:27], v[12:13]
	s_and_saveexec_b64 s[0:1], vcc
	s_cbranch_execz .LBB3_58
; %bb.6:
	s_mov_b32 s0, 0x5384540f
	v_mov_b32_e32 v0, v9
	v_add_co_u32_e32 v52, vcc, s0, v8
	s_mov_b32 s0, 0x646e171e
	v_add_co_u32_e32 v53, vcc, s0, v0
	s_mov_b32 s0, 0x1715609d
	;; [unrolled: 2-line block ×6, first 2 shown]
	v_alignbit_b32 v59, v3, v2, 2
	s_mov_b32 s88, 0xd2511f53
	v_add_co_u32_e32 v58, vcc, s0, v8
	v_mad_u64_u32 v[4:5], s[0:1], v59, s88, 0
	v_xor_b32_e32 v1, v5, v9
	v_xor_b32_e32 v1, v1, v13
	s_mov_b32 s89, 0xcd9e8d57
	v_mad_u64_u32 v[6:7], s[0:1], v1, s89, 0
	v_xor_b32_e32 v1, v58, v7
	v_mad_u64_u32 v[14:15], s[0:1], v12, s89, 0
	v_and_b32_e32 v48, 3, v2
	v_xor_b32_e32 v1, v1, v14
	v_xor_b32_e32 v2, v8, v15
	v_lshrrev_b32_e32 v60, 2, v3
	v_mad_u64_u32 v[16:17], s[0:1], v1, s88, 0
	v_xor_b32_e32 v2, v2, v60
	v_xor_b32_e32 v1, v57, v17
	v_mad_u64_u32 v[2:3], s[0:1], v2, s88, 0
	v_xor_b32_e32 v1, v1, v2
	v_mad_u64_u32 v[14:15], s[0:1], v1, s89, 0
	s_mov_b32 s0, 0xbb67ae85
	v_add_co_u32_e32 v61, vcc, s0, v0
	v_xor_b32_e32 v2, v61, v3
	v_xor_b32_e32 v2, v2, v4
	v_xor_b32_e32 v1, v56, v15
	v_mad_u64_u32 v[2:3], s[0:1], v2, s89, 0
	v_xor_b32_e32 v1, v1, v2
	v_mad_u64_u32 v[4:5], s[0:1], v1, s88, 0
	s_mov_b32 s0, 0x3c6ef372
	v_add_co_u32_e32 v62, vcc, s0, v8
	v_xor_b32_e32 v2, v62, v3
	;; [unrolled: 8-line block ×6, first 2 shown]
	v_add_co_u32_e32 v51, vcc, 0xdb3d7428, v0
	v_xor_b32_e32 v2, v2, v6
	v_xor_b32_e32 v1, v51, v19
	v_mad_u64_u32 v[2:3], s[0:1], v2, s88, 0
	v_xor_b32_e32 v1, v1, v2
	v_mad_u64_u32 v[20:21], s[0:1], v1, s89, 0
	s_mov_b32 s0, 0x1fd5c5a3
	v_add_co_u32_e32 v67, vcc, s0, v0
	v_xor_b32_e32 v0, v67, v3
	v_xor_b32_e32 v0, v0, v16
	v_mad_u64_u32 v[0:1], s[0:1], v0, s89, 0
	s_mov_b32 s0, 0xf1bbcdc8
	s_load_dwordx8 s[8:15], s[4:5], 0x30
	v_add_u32_e32 v49, 0x8ff34781, v8
	v_xor_b32_e32 v0, v21, v0
	v_add_co_u32_e32 v68, vcc, s0, v8
	v_xor_b32_e32 v4, v49, v0
	v_xor_b32_e32 v0, v68, v1
	v_xor_b32_e32 v0, v0, v14
	s_add_u32 s34, s4, 48
	v_mad_u64_u32 v[0:1], s[0:1], v0, s88, 0
	s_addc_u32 s35, s5, 0
	s_waitcnt lgkmcnt(0)
	s_add_i32 s0, s8, -1
	s_cmp_gt_u32 s0, 1
	s_cselect_b64 s[40:41], -1, 0
	s_cmp_lg_u32 s8, 0
	s_cselect_b64 s[42:43], -1, 0
	s_add_u32 s44, s4, 0xf4
	s_addc_u32 s45, s5, 0
	s_min_u32 s1, s0, 15
	s_cmp_gt_u32 s8, 1
	s_cselect_b64 s[46:47], -1, 0
	s_load_dwordx2 s[48:49], s[4:5], 0x148
	s_load_dwordx2 s[50:51], s[4:5], 0xf4
	s_load_dwordx4 s[28:31], s[4:5], 0x138
	s_add_i32 s1, s1, 1
	s_mov_b32 s8, s13
	s_and_b32 s13, s1, 3
	s_cmp_lg_u32 s0, 2
	s_cselect_b64 s[52:53], -1, 0
	s_and_b32 s15, s1, 28
	v_add_u32_e32 v50, 0x96a522ad, v9
	v_xor_b32_e32 v1, v1, v18
	s_cmp_lg_u32 s13, 0
	s_mov_b32 s58, 0x54442d18
	s_mov_b32 s60, 0
	;; [unrolled: 1-line block ×9, first 2 shown]
	v_xor_b32_e32 v6, v50, v1
	v_mov_b32_e32 v5, v20
	v_mov_b32_e32 v7, v0
	s_mov_b64 s[54:55], 0
	s_cselect_b64 s[56:57], -1, 0
	s_mov_b32 s59, 0x400921fb
	s_mov_b32 s61, 0x41d00000
	;; [unrolled: 1-line block ×3, first 2 shown]
	s_movk_i32 s90, 0xff80
	s_mov_b32 s65, 0x7ff00000
	s_mov_b32 s67, 0x3ff921fb
	;; [unrolled: 1-line block ×9, first 2 shown]
	s_movk_i32 s91, 0x1f8
	v_mov_b32_e32 v69, 0x40100000
	v_mov_b32_e32 v70, 0x3ff00000
	;; [unrolled: 1-line block ×31, first 2 shown]
	s_branch .LBB3_9
.LBB3_7:                                ;   in Loop: Header=BB3_9 Depth=1
	s_or_b64 exec, exec, s[0:1]
	v_mul_f64 v[46:47], v[42:43], v[42:43]
	v_fma_f64 v[74:75], v[42:43], v[42:43], -v[46:47]
	v_add_f64 v[76:77], v[44:45], v[44:45]
	v_fmac_f64_e32 v[74:75], v[42:43], v[76:77]
	v_add_f64 v[46:47], v[46:47], v[74:75]
	v_pk_mov_b32 v[74:75], v[14:15], v[14:15] op_sel:[0,1]
	v_fmac_f64_e32 v[74:75], s[80:81], v[46:47]
	v_pk_mov_b32 v[76:77], v[16:17], v[16:17] op_sel:[0,1]
	v_fmac_f64_e32 v[76:77], v[46:47], v[74:75]
	;; [unrolled: 2-line block ×13, first 2 shown]
	v_mul_f64 v[46:47], v[46:47], v[74:75]
	v_mul_f64 v[74:75], v[42:43], v[46:47]
	v_add_f64 v[76:77], v[42:43], v[74:75]
	v_fma_f64 v[46:47], v[42:43], v[46:47], -v[74:75]
	v_add_f64 v[42:43], v[76:77], -v[42:43]
	v_add_f64 v[42:43], v[74:75], -v[42:43]
	v_add_f64 v[44:45], v[44:45], v[46:47]
	v_add_f64 v[42:43], v[44:45], v[42:43]
	;; [unrolled: 1-line block ×3, first 2 shown]
	v_rcp_f64_e32 v[46:47], v[44:45]
	v_add_f64 v[74:75], v[44:45], -v[76:77]
	v_add_f64 v[42:43], v[42:43], -v[74:75]
	v_and_b32_e32 v3, 1, v3
	v_fma_f64 v[74:75], -v[44:45], v[46:47], 1.0
	v_fmac_f64_e32 v[46:47], v[74:75], v[46:47]
	v_fma_f64 v[74:75], -v[44:45], v[46:47], 1.0
	v_fmac_f64_e32 v[46:47], v[74:75], v[46:47]
	v_mul_f64 v[74:75], v[44:45], v[46:47]
	v_fma_f64 v[76:77], v[46:47], v[44:45], -v[74:75]
	v_fmac_f64_e32 v[76:77], v[46:47], v[42:43]
	v_add_f64 v[42:43], v[74:75], v[76:77]
	v_add_f64 v[78:79], -v[42:43], 1.0
	v_add_f64 v[74:75], v[42:43], -v[74:75]
	v_add_f64 v[80:81], -v[78:79], 1.0
	v_add_f64 v[42:43], v[80:81], -v[42:43]
	v_add_f64 v[74:75], v[74:75], -v[76:77]
	v_add_f64 v[42:43], v[74:75], v[42:43]
	v_add_f64 v[42:43], v[78:79], v[42:43]
	v_mul_f64 v[42:43], v[46:47], v[42:43]
	v_add_f64 v[42:43], v[46:47], v[42:43]
	v_xor_b32_e32 v7, 0x80000000, v43
	v_cmp_eq_u32_e32 vcc, 0, v3
	v_cndmask_b32_e32 v7, v7, v45, vcc
	v_and_b32_e32 v11, 0x80000000, v5
	v_cndmask_b32_e32 v3, v42, v44, vcc
	v_xor_b32_e32 v7, v7, v11
	v_cmp_class_f64_e64 vcc, v[4:5], s91
	v_cndmask_b32_e32 v4, 0, v3, vcc
	v_cndmask_b32_e32 v5, v71, v7, vcc
	s_waitcnt lgkmcnt(0)
	v_pk_mov_b32 v[42:43], s[30:31], s[30:31] op_sel:[0,1]
	v_fma_f64 v[4:5], s[48:49], v[4:5], v[42:43]
	global_store_dwordx2 v6, v[4:5], s[28:29]
.LBB3_8:                                ;   in Loop: Header=BB3_9 Depth=1
	s_or_b64 exec, exec, s[36:37]
	v_add_co_u32_e32 v12, vcc, s86, v12
	v_mov_b32_e32 v3, v40
	v_addc_co_u32_e32 v13, vcc, 0, v13, vcc
	v_cmp_le_i64_e32 vcc, s[26:27], v[12:13]
	v_pk_mov_b32 v[6:7], v[2:3], v[2:3] op_sel:[0,1]
	s_or_b64 s[54:55], vcc, s[54:55]
	v_pk_mov_b32 v[4:5], v[0:1], v[0:1] op_sel:[0,1]
	s_waitcnt lgkmcnt(0)
	s_barrier
	s_andn2_b64 exec, exec, s[54:55]
	s_cbranch_execz .LBB3_58
.LBB3_9:                                ; =>This Loop Header: Depth=1
                                        ;     Child Loop BB3_24 Depth 2
                                        ;     Child Loop BB3_30 Depth 2
	;; [unrolled: 1-line block ×4, first 2 shown]
	v_add_co_u32_e32 v59, vcc, 1, v59
	v_cndmask_b32_e64 v0, 0, 1, vcc
	v_addc_co_u32_e32 v60, vcc, 0, v60, vcc
	v_cmp_eq_u32_e32 vcc, 0, v60
	v_cndmask_b32_e32 v0, 0, v0, vcc
	v_add_u32_e32 v72, v0, v72
	v_cmp_eq_u32_e32 vcc, 0, v72
	v_cndmask_b32_e32 v0, 0, v0, vcc
	v_add_u32_e32 v73, v0, v73
	v_mad_u64_u32 v[0:1], s[0:1], v59, s88, 0
	v_mad_u64_u32 v[2:3], s[0:1], v72, s89, 0
	v_xor_b32_e32 v1, v1, v9
	v_xor_b32_e32 v3, v3, v8
	v_xor_b32_e32 v1, v73, v1
	v_xor_b32_e32 v3, v60, v3
	v_mad_u64_u32 v[42:43], s[0:1], v1, s89, 0
	v_mad_u64_u32 v[40:41], s[0:1], v3, s88, 0
	v_xor_b32_e32 v1, v58, v43
	v_xor_b32_e32 v1, v1, v2
	v_xor_b32_e32 v2, v61, v41
	v_xor_b32_e32 v2, v2, v0
	;; [unrolled: 6-line block ×10, first 2 shown]
	v_mov_b32_e32 v1, v42
	v_cmp_lt_i32_e32 vcc, 1, v48
	s_and_saveexec_b64 s[0:1], vcc
	s_xor_b64 s[0:1], exec, s[0:1]
	s_cbranch_execz .LBB3_15
; %bb.10:                               ;   in Loop: Header=BB3_9 Depth=1
	v_cmp_lt_i32_e32 vcc, 2, v48
	s_and_saveexec_b64 s[2:3], vcc
	s_xor_b64 s[2:3], exec, s[2:3]
; %bb.11:                               ;   in Loop: Header=BB3_9 Depth=1
	v_mov_b32_e32 v4, v7
	v_mov_b32_e32 v5, v0
; %bb.12:                               ;   in Loop: Header=BB3_9 Depth=1
	s_andn2_saveexec_b64 s[2:3], s[2:3]
; %bb.13:                               ;   in Loop: Header=BB3_9 Depth=1
	v_mov_b32_e32 v4, v6
	v_mov_b32_e32 v5, v7
; %bb.14:                               ;   in Loop: Header=BB3_9 Depth=1
	s_or_b64 exec, exec, s[2:3]
.LBB3_15:                               ;   in Loop: Header=BB3_9 Depth=1
	s_andn2_saveexec_b64 s[0:1], s[0:1]
	s_cbranch_execz .LBB3_19
; %bb.16:                               ;   in Loop: Header=BB3_9 Depth=1
	v_cmp_eq_u32_e32 vcc, 1, v48
	s_and_saveexec_b64 s[2:3], vcc
; %bb.17:                               ;   in Loop: Header=BB3_9 Depth=1
	v_mov_b32_e32 v4, v5
	v_mov_b32_e32 v5, v6
; %bb.18:                               ;   in Loop: Header=BB3_9 Depth=1
	s_or_b64 exec, exec, s[2:3]
.LBB3_19:                               ;   in Loop: Header=BB3_9 Depth=1
	s_or_b64 exec, exec, s[0:1]
	v_cndmask_b32_e64 v3, 0, 1, s[40:41]
	v_cmp_gt_i64_e32 vcc, s[24:25], v[12:13]
	v_cmp_ne_u32_e64 s[0:1], 1, v3
	s_and_saveexec_b64 s[82:83], vcc
	s_cbranch_execz .LBB3_39
; %bb.20:                               ;   in Loop: Header=BB3_9 Depth=1
	s_and_b64 vcc, exec, s[0:1]
	s_cbranch_vccnz .LBB3_26
; %bb.21:                               ;   in Loop: Header=BB3_9 Depth=1
	s_andn2_b64 vcc, exec, s[42:43]
	s_cbranch_vccnz .LBB3_27
; %bb.22:                               ;   in Loop: Header=BB3_9 Depth=1
	s_mov_b32 s4, 0
	s_andn2_b64 vcc, exec, s[52:53]
	v_mov_b32_e32 v6, 0
	s_cbranch_vccnz .LBB3_28
; %bb.23:                               ;   in Loop: Header=BB3_9 Depth=1
	s_mov_b32 s66, 0
	v_mov_b32_e32 v6, 0
	s_mov_b64 s[2:3], s[34:35]
	s_mov_b64 s[84:85], s[44:45]
	v_mov_b32_e32 v3, v12
.LBB3_24:                               ;   Parent Loop BB3_9 Depth=1
                                        ; =>  This Inner Loop Header: Depth=2
	s_load_dwordx8 s[16:23], s[2:3], 0x4
	s_load_dwordx4 s[4:7], s[2:3], 0x24
	s_load_dwordx4 s[36:39], s[84:85], 0x0
	s_add_u32 s2, s2, 48
	s_addc_u32 s3, s3, 0
	s_waitcnt lgkmcnt(0)
	v_mul_hi_u32 v7, s17, v3
	v_add_u32_e32 v7, v3, v7
	v_lshrrev_b32_e32 v7, s18, v7
	v_mul_lo_u32 v11, v7, s16
	v_mul_hi_u32 v41, s20, v7
	v_sub_u32_e32 v3, v3, v11
	v_add_u32_e32 v11, v7, v41
	v_lshrrev_b32_e32 v11, s21, v11
	v_mul_lo_u32 v41, v11, s19
	v_mul_hi_u32 v42, s23, v11
	v_sub_u32_e32 v7, v7, v41
	v_add_u32_e32 v41, v11, v42
	v_mul_lo_u32 v3, v3, s36
	v_mul_lo_u32 v7, v7, s37
	v_lshrrev_b32_e32 v41, s4, v41
	v_add3_u32 v6, v3, v6, v7
	v_mul_lo_u32 v3, v41, s22
	v_mul_hi_u32 v7, s6, v41
	v_sub_u32_e32 v3, v11, v3
	v_add_u32_e32 v7, v41, v7
	v_mul_lo_u32 v11, v3, s38
	v_lshrrev_b32_e32 v3, s7, v7
	s_add_i32 s66, s66, 4
	v_mul_lo_u32 v7, v3, s5
	s_add_u32 s84, s84, 16
	v_sub_u32_e32 v7, v41, v7
	s_addc_u32 s85, s85, 0
	v_mul_lo_u32 v7, v7, s39
	s_cmp_lg_u32 s15, s66
	v_add3_u32 v6, v11, v6, v7
	s_cbranch_scc1 .LBB3_24
; %bb.25:                               ;   in Loop: Header=BB3_9 Depth=1
	s_mov_b32 s4, s15
	s_andn2_b64 vcc, exec, s[56:57]
	s_cbranch_vccz .LBB3_29
	s_branch .LBB3_31
.LBB3_26:                               ;   in Loop: Header=BB3_9 Depth=1
                                        ; implicit-def: $vgpr6
	s_branch .LBB3_32
.LBB3_27:                               ;   in Loop: Header=BB3_9 Depth=1
	v_mov_b32_e32 v6, 0
	s_branch .LBB3_31
.LBB3_28:                               ;   in Loop: Header=BB3_9 Depth=1
	v_mov_b32_e32 v3, v12
	s_andn2_b64 vcc, exec, s[56:57]
	s_cbranch_vccnz .LBB3_31
.LBB3_29:                               ;   in Loop: Header=BB3_9 Depth=1
	s_lshl_b32 s2, s4, 2
	s_add_u32 s2, s44, s2
	s_addc_u32 s3, s45, 0
	s_mul_i32 s4, s4, 12
	s_add_u32 s4, s34, s4
	s_addc_u32 s5, s35, 0
	s_mov_b32 s6, s13
.LBB3_30:                               ;   Parent Loop BB3_9 Depth=1
                                        ; =>  This Inner Loop Header: Depth=2
	s_load_dwordx2 s[16:17], s[4:5], 0x4
	s_load_dword s7, s[4:5], 0xc
	s_load_dword s18, s[2:3], 0x0
	s_add_u32 s4, s4, 12
	s_addc_u32 s5, s5, 0
	s_waitcnt lgkmcnt(0)
	v_mul_hi_u32 v7, s17, v3
	v_add_u32_e32 v7, v3, v7
	v_lshrrev_b32_e32 v7, s7, v7
	s_add_u32 s2, s2, 4
	v_mul_lo_u32 v11, v7, s16
	s_addc_u32 s3, s3, 0
	s_add_i32 s6, s6, -1
	v_sub_u32_e32 v11, v3, v11
	s_cmp_lg_u32 s6, 0
	v_mov_b32_e32 v3, v7
	v_mad_u64_u32 v[6:7], s[16:17], v11, s18, v[6:7]
	s_cbranch_scc1 .LBB3_30
.LBB3_31:                               ;   in Loop: Header=BB3_9 Depth=1
	s_cbranch_execnz .LBB3_34
.LBB3_32:                               ;   in Loop: Header=BB3_9 Depth=1
	v_mul_hi_u32 v3, v12, s10
	v_add_u32_e32 v3, v3, v12
	v_lshrrev_b32_e32 v3, s11, v3
	v_mul_lo_u32 v6, v3, s9
	v_sub_u32_e32 v6, v12, v6
	s_andn2_b64 vcc, exec, s[46:47]
	s_waitcnt lgkmcnt(0)
	v_mul_lo_u32 v6, v6, s50
	s_cbranch_vccnz .LBB3_34
; %bb.33:                               ;   in Loop: Header=BB3_9 Depth=1
	v_mul_hi_u32 v7, s8, v3
	v_add_u32_e32 v7, v3, v7
	v_lshrrev_b32_e32 v7, s14, v7
	v_mul_lo_u32 v7, v7, s12
	v_sub_u32_e32 v3, v3, v7
	v_mad_u64_u32 v[6:7], s[2:3], v3, s51, v[6:7]
.LBB3_34:                               ;   in Loop: Header=BB3_9 Depth=1
	v_cvt_f32_u32_e32 v3, v4
	v_mov_b32_e32 v4, 0x2f800000
                                        ; implicit-def: $vgpr44_vgpr45
                                        ; implicit-def: $vgpr46_vgpr47
	v_fmac_f32_e32 v4, 0x2f800000, v3
	v_cvt_f64_f32_e32 v[42:43], v4
	v_add_f64 v[42:43], v[42:43], -0.5
	v_mul_f64 v[42:43], v[42:43], s[58:59]
	v_cmp_nlt_f64_e64 s[2:3], |v[42:43]|, s[60:61]
                                        ; implicit-def: $vgpr3
	s_and_saveexec_b64 s[4:5], s[2:3]
	s_xor_b64 s[4:5], exec, s[4:5]
	s_cbranch_execz .LBB3_36
; %bb.35:                               ;   in Loop: Header=BB3_9 Depth=1
	v_and_b32_e32 v3, 0x7fffffff, v43
	v_ldexp_f64 v[74:75], |v[42:43]|, s90
	v_cmp_ge_f64_e64 vcc, |v[42:43]|, s[62:63]
	v_trig_preop_f64 v[44:45], |v[42:43]|, 0
	v_cndmask_b32_e32 v75, v3, v75, vcc
	v_cndmask_b32_e32 v74, v42, v74, vcc
	v_trig_preop_f64 v[46:47], |v[42:43]|, 1
	v_mul_f64 v[78:79], v[44:45], v[74:75]
	v_mul_f64 v[76:77], v[46:47], v[74:75]
	v_fma_f64 v[44:45], v[44:45], v[74:75], -v[78:79]
	v_add_f64 v[80:81], v[76:77], v[44:45]
	v_add_f64 v[82:83], v[78:79], v[80:81]
	v_ldexp_f64 v[84:85], v[82:83], -2
	v_fract_f64_e32 v[86:87], v[84:85]
	v_cmp_neq_f64_e64 vcc, |v[84:85]|, s[64:65]
	v_cndmask_b32_e32 v85, 0, v87, vcc
	v_cndmask_b32_e32 v84, 0, v86, vcc
	v_add_f64 v[86:87], v[80:81], -v[76:77]
	v_add_f64 v[44:45], v[44:45], -v[86:87]
	v_add_f64 v[86:87], v[80:81], -v[86:87]
	v_add_f64 v[86:87], v[76:77], -v[86:87]
	v_fma_f64 v[46:47], v[46:47], v[74:75], -v[76:77]
	v_trig_preop_f64 v[76:77], |v[42:43]|, 2
	v_add_f64 v[44:45], v[44:45], v[86:87]
	v_mul_f64 v[86:87], v[76:77], v[74:75]
	v_add_f64 v[88:89], v[86:87], v[46:47]
	v_add_f64 v[90:91], v[88:89], v[44:45]
	v_add_f64 v[78:79], v[82:83], -v[78:79]
	v_add_f64 v[82:83], v[90:91], -v[88:89]
	;; [unrolled: 1-line block ×5, first 2 shown]
	v_add_f64 v[44:45], v[44:45], v[82:83]
	v_add_f64 v[82:83], v[88:89], -v[86:87]
	v_add_f64 v[46:47], v[46:47], -v[82:83]
	;; [unrolled: 1-line block ×4, first 2 shown]
	v_add_f64 v[46:47], v[46:47], v[82:83]
	v_add_f64 v[78:79], v[80:81], -v[78:79]
	v_add_f64 v[44:45], v[46:47], v[44:45]
	v_fma_f64 v[46:47], v[76:77], v[74:75], -v[86:87]
	v_add_f64 v[80:81], v[78:79], v[90:91]
	v_add_f64 v[44:45], v[46:47], v[44:45]
	v_ldexp_f64 v[46:47], v[84:85], 2
	v_add_f64 v[74:75], v[80:81], v[46:47]
	v_cmp_gt_f64_e32 vcc, 0, v[74:75]
	v_cndmask_b32_e32 v11, 0, v69, vcc
	v_add_f64 v[46:47], v[46:47], v[10:11]
	v_add_f64 v[74:75], v[80:81], v[46:47]
	v_cvt_i32_f64_e32 v3, v[74:75]
	v_cvt_f64_i32_e32 v[74:75], v3
	v_add_f64 v[46:47], v[46:47], -v[74:75]
	v_add_f64 v[78:79], v[80:81], -v[78:79]
	v_add_f64 v[74:75], v[80:81], v[46:47]
	v_add_f64 v[78:79], v[90:91], -v[78:79]
	v_add_f64 v[46:47], v[74:75], -v[46:47]
	v_cmp_le_f64_e32 vcc, 0.5, v[74:75]
	v_add_f64 v[44:45], v[78:79], v[44:45]
	v_add_f64 v[46:47], v[80:81], -v[46:47]
	v_cndmask_b32_e32 v11, 0, v70, vcc
	v_add_f64 v[44:45], v[44:45], v[46:47]
	v_add_f64 v[46:47], v[74:75], -v[10:11]
	v_add_f64 v[74:75], v[46:47], v[44:45]
	v_add_f64 v[46:47], v[74:75], -v[46:47]
	s_mov_b32 s66, s58
	v_add_f64 v[44:45], v[44:45], -v[46:47]
	v_mul_f64 v[46:47], v[74:75], s[66:67]
	v_fma_f64 v[76:77], v[74:75], s[66:67], -v[46:47]
	s_mov_b32 s71, s69
	v_fmac_f64_e32 v[76:77], s[70:71], v[74:75]
	v_fmac_f64_e32 v[76:77], s[66:67], v[44:45]
	v_add_f64 v[44:45], v[46:47], v[76:77]
	v_add_f64 v[46:47], v[44:45], -v[46:47]
	v_addc_co_u32_e64 v3, s[2:3], 0, v3, vcc
	v_add_f64 v[46:47], v[76:77], -v[46:47]
.LBB3_36:                               ;   in Loop: Header=BB3_9 Depth=1
	s_andn2_saveexec_b64 s[2:3], s[4:5]
	s_cbranch_execz .LBB3_38
; %bb.37:                               ;   in Loop: Header=BB3_9 Depth=1
	v_mul_f64 v[44:45], |v[42:43]|, s[72:73]
	v_rndne_f64_e32 v[74:75], v[44:45]
	s_mov_b32 s74, s58
	v_fma_f64 v[44:45], v[74:75], s[74:75], |v[42:43]|
	v_mul_f64 v[76:77], v[74:75], s[76:77]
	v_add_f64 v[80:81], v[44:45], v[76:77]
	v_fma_f64 v[46:47], s[76:77], v[74:75], v[44:45]
	s_mov_b32 s68, s76
	v_add_f64 v[44:45], v[44:45], -v[80:81]
	v_fma_f64 v[78:79], s[68:69], v[74:75], v[76:77]
	v_add_f64 v[44:45], v[44:45], v[76:77]
	v_add_f64 v[76:77], v[80:81], -v[46:47]
	v_add_f64 v[44:45], v[76:77], v[44:45]
	v_add_f64 v[76:77], v[44:45], -v[78:79]
	v_fmac_f64_e32 v[76:77], s[78:79], v[74:75]
	v_add_f64 v[44:45], v[46:47], v[76:77]
	v_add_f64 v[46:47], v[44:45], -v[46:47]
	v_add_f64 v[46:47], v[76:77], -v[46:47]
	v_cvt_i32_f64_e32 v3, v[74:75]
.LBB3_38:                               ;   in Loop: Header=BB3_9 Depth=1
	s_or_b64 exec, exec, s[2:3]
	v_mul_f64 v[74:75], v[44:45], v[44:45]
	v_fma_f64 v[76:77], v[44:45], v[44:45], -v[74:75]
	v_add_f64 v[78:79], v[46:47], v[46:47]
	v_fmac_f64_e32 v[76:77], v[44:45], v[78:79]
	v_add_f64 v[74:75], v[74:75], v[76:77]
	v_pk_mov_b32 v[76:77], v[14:15], v[14:15] op_sel:[0,1]
	v_fmac_f64_e32 v[76:77], s[80:81], v[74:75]
	v_pk_mov_b32 v[78:79], v[16:17], v[16:17] op_sel:[0,1]
	v_fmac_f64_e32 v[78:79], v[74:75], v[76:77]
	;; [unrolled: 2-line block ×13, first 2 shown]
	v_mul_f64 v[74:75], v[74:75], v[76:77]
	v_mul_f64 v[76:77], v[44:45], v[74:75]
	v_add_f64 v[78:79], v[44:45], v[76:77]
	v_fma_f64 v[74:75], v[44:45], v[74:75], -v[76:77]
	v_add_f64 v[44:45], v[78:79], -v[44:45]
	v_add_f64 v[44:45], v[76:77], -v[44:45]
	v_add_f64 v[46:47], v[46:47], v[74:75]
	v_add_f64 v[44:45], v[46:47], v[44:45]
	;; [unrolled: 1-line block ×3, first 2 shown]
	v_rcp_f64_e32 v[74:75], v[46:47]
	v_add_f64 v[76:77], v[46:47], -v[78:79]
	v_add_f64 v[44:45], v[44:45], -v[76:77]
	v_and_b32_e32 v3, 1, v3
	v_fma_f64 v[76:77], -v[46:47], v[74:75], 1.0
	v_fmac_f64_e32 v[74:75], v[76:77], v[74:75]
	v_fma_f64 v[76:77], -v[46:47], v[74:75], 1.0
	v_fmac_f64_e32 v[74:75], v[76:77], v[74:75]
	v_mul_f64 v[76:77], v[46:47], v[74:75]
	v_fma_f64 v[78:79], v[74:75], v[46:47], -v[76:77]
	v_fmac_f64_e32 v[78:79], v[74:75], v[44:45]
	v_add_f64 v[44:45], v[76:77], v[78:79]
	v_add_f64 v[80:81], -v[44:45], 1.0
	v_add_f64 v[76:77], v[44:45], -v[76:77]
	v_add_f64 v[82:83], -v[80:81], 1.0
	v_add_f64 v[44:45], v[82:83], -v[44:45]
	v_add_f64 v[76:77], v[76:77], -v[78:79]
	v_add_f64 v[44:45], v[76:77], v[44:45]
	v_add_f64 v[44:45], v[80:81], v[44:45]
	v_mul_f64 v[44:45], v[74:75], v[44:45]
	v_add_f64 v[44:45], v[74:75], v[44:45]
	v_xor_b32_e32 v4, 0x80000000, v45
	v_cmp_eq_u32_e32 vcc, 0, v3
	v_cndmask_b32_e32 v4, v4, v47, vcc
	v_and_b32_e32 v7, 0x80000000, v43
	v_cndmask_b32_e32 v3, v44, v46, vcc
	v_xor_b32_e32 v4, v4, v7
	v_cmp_class_f64_e64 vcc, v[42:43], s91
	v_cndmask_b32_e32 v42, 0, v3, vcc
	v_cndmask_b32_e32 v43, v71, v4, vcc
	s_waitcnt lgkmcnt(0)
	v_pk_mov_b32 v[44:45], s[30:31], s[30:31] op_sel:[0,1]
	v_fma_f64 v[42:43], s[48:49], v[42:43], v[44:45]
	global_store_dwordx2 v6, v[42:43], s[28:29]
.LBB3_39:                               ;   in Loop: Header=BB3_9 Depth=1
	s_or_b64 exec, exec, s[82:83]
	v_mov_b32_e32 v3, s87
	v_add_co_u32_e32 v42, vcc, s33, v12
	v_addc_co_u32_e32 v43, vcc, v13, v3, vcc
	v_cmp_gt_i64_e32 vcc, s[24:25], v[42:43]
	s_and_saveexec_b64 s[36:37], vcc
	s_cbranch_execz .LBB3_8
; %bb.40:                               ;   in Loop: Header=BB3_9 Depth=1
	s_and_b64 vcc, exec, s[0:1]
	s_cbranch_vccnz .LBB3_46
; %bb.41:                               ;   in Loop: Header=BB3_9 Depth=1
	s_andn2_b64 vcc, exec, s[42:43]
	s_cbranch_vccnz .LBB3_47
; %bb.42:                               ;   in Loop: Header=BB3_9 Depth=1
	s_mov_b32 s2, 0
	s_andn2_b64 vcc, exec, s[52:53]
	v_mov_b32_e32 v6, 0
	s_cbranch_vccnz .LBB3_48
; %bb.43:                               ;   in Loop: Header=BB3_9 Depth=1
	s_mov_b32 s66, 0
	v_mov_b32_e32 v6, 0
	s_mov_b64 s[38:39], s[34:35]
	s_mov_b64 s[82:83], s[44:45]
	v_mov_b32_e32 v3, v42
.LBB3_44:                               ;   Parent Loop BB3_9 Depth=1
                                        ; =>  This Inner Loop Header: Depth=2
	s_load_dwordx8 s[0:7], s[38:39], 0x4
	s_load_dwordx4 s[16:19], s[38:39], 0x24
	s_load_dwordx4 s[20:23], s[82:83], 0x0
	s_add_u32 s38, s38, 48
	s_addc_u32 s39, s39, 0
	s_waitcnt lgkmcnt(0)
	v_mul_hi_u32 v4, s1, v3
	v_add_u32_e32 v4, v3, v4
	v_lshrrev_b32_e32 v4, s2, v4
	v_mul_lo_u32 v7, v4, s0
	v_mul_hi_u32 v11, s4, v4
	v_sub_u32_e32 v3, v3, v7
	v_add_u32_e32 v7, v4, v11
	v_lshrrev_b32_e32 v7, s5, v7
	v_mul_lo_u32 v11, v7, s3
	v_mul_hi_u32 v41, s7, v7
	v_sub_u32_e32 v4, v4, v11
	v_add_u32_e32 v11, v7, v41
	v_mul_lo_u32 v3, v3, s20
	v_mul_lo_u32 v4, v4, s21
	v_lshrrev_b32_e32 v11, s16, v11
	v_add3_u32 v4, v3, v6, v4
	v_mul_lo_u32 v3, v11, s6
	v_mul_hi_u32 v6, s18, v11
	v_sub_u32_e32 v3, v7, v3
	v_add_u32_e32 v6, v11, v6
	v_mul_lo_u32 v7, v3, s22
	v_lshrrev_b32_e32 v3, s19, v6
	s_add_i32 s66, s66, 4
	v_mul_lo_u32 v6, v3, s17
	s_add_u32 s82, s82, 16
	v_sub_u32_e32 v6, v11, v6
	s_addc_u32 s83, s83, 0
	v_mul_lo_u32 v6, v6, s23
	s_cmp_eq_u32 s15, s66
	v_add3_u32 v6, v7, v4, v6
	s_cbranch_scc0 .LBB3_44
; %bb.45:                               ;   in Loop: Header=BB3_9 Depth=1
	s_mov_b32 s2, s15
	s_andn2_b64 vcc, exec, s[56:57]
	s_cbranch_vccz .LBB3_49
	s_branch .LBB3_51
.LBB3_46:                               ;   in Loop: Header=BB3_9 Depth=1
                                        ; implicit-def: $vgpr6
	s_branch .LBB3_52
.LBB3_47:                               ;   in Loop: Header=BB3_9 Depth=1
	v_mov_b32_e32 v6, 0
	s_branch .LBB3_51
.LBB3_48:                               ;   in Loop: Header=BB3_9 Depth=1
	v_mov_b32_e32 v3, v42
	s_andn2_b64 vcc, exec, s[56:57]
	s_cbranch_vccnz .LBB3_51
.LBB3_49:                               ;   in Loop: Header=BB3_9 Depth=1
	s_lshl_b32 s0, s2, 2
	s_add_u32 s0, s44, s0
	s_addc_u32 s1, s45, 0
	s_mul_i32 s2, s2, 12
	s_add_u32 s2, s34, s2
	s_addc_u32 s3, s35, 0
	s_mov_b32 s4, s13
.LBB3_50:                               ;   Parent Loop BB3_9 Depth=1
                                        ; =>  This Inner Loop Header: Depth=2
	s_load_dwordx2 s[6:7], s[2:3], 0x4
	s_load_dword s5, s[2:3], 0xc
	s_load_dword s16, s[0:1], 0x0
	s_add_u32 s2, s2, 12
	s_addc_u32 s3, s3, 0
	s_waitcnt lgkmcnt(0)
	v_mul_hi_u32 v4, s7, v3
	v_add_u32_e32 v4, v3, v4
	v_lshrrev_b32_e32 v4, s5, v4
	s_add_u32 s0, s0, 4
	v_mul_lo_u32 v7, v4, s6
	s_addc_u32 s1, s1, 0
	s_add_i32 s4, s4, -1
	v_sub_u32_e32 v7, v3, v7
	s_cmp_lg_u32 s4, 0
	v_mov_b32_e32 v3, v4
	v_mad_u64_u32 v[6:7], s[6:7], v7, s16, v[6:7]
	s_cbranch_scc1 .LBB3_50
.LBB3_51:                               ;   in Loop: Header=BB3_9 Depth=1
	s_cbranch_execnz .LBB3_54
.LBB3_52:                               ;   in Loop: Header=BB3_9 Depth=1
	v_mul_hi_u32 v3, v42, s10
	v_add_u32_e32 v3, v3, v42
	v_lshrrev_b32_e32 v3, s11, v3
	v_mul_lo_u32 v4, v3, s9
	v_sub_u32_e32 v4, v42, v4
	s_andn2_b64 vcc, exec, s[46:47]
	s_waitcnt lgkmcnt(0)
	v_mul_lo_u32 v6, v4, s50
	s_cbranch_vccnz .LBB3_54
; %bb.53:                               ;   in Loop: Header=BB3_9 Depth=1
	v_mul_hi_u32 v4, s8, v3
	v_add_u32_e32 v4, v3, v4
	v_lshrrev_b32_e32 v4, s14, v4
	v_mul_lo_u32 v4, v4, s12
	v_sub_u32_e32 v3, v3, v4
	v_mad_u64_u32 v[6:7], s[0:1], v3, s51, v[6:7]
.LBB3_54:                               ;   in Loop: Header=BB3_9 Depth=1
	v_cvt_f32_u32_e32 v3, v5
	v_mov_b32_e32 v4, 0x2f800000
                                        ; implicit-def: $vgpr42_vgpr43
                                        ; implicit-def: $vgpr44_vgpr45
	v_fmac_f32_e32 v4, 0x2f800000, v3
	v_cvt_f64_f32_e32 v[4:5], v4
	v_add_f64 v[4:5], v[4:5], -0.5
	v_mul_f64 v[4:5], v[4:5], s[58:59]
	v_cmp_nlt_f64_e64 s[0:1], |v[4:5]|, s[60:61]
                                        ; implicit-def: $vgpr3
	s_and_saveexec_b64 s[2:3], s[0:1]
	s_xor_b64 s[2:3], exec, s[2:3]
	s_cbranch_execz .LBB3_56
; %bb.55:                               ;   in Loop: Header=BB3_9 Depth=1
	v_and_b32_e32 v3, 0x7fffffff, v5
	v_ldexp_f64 v[46:47], |v[4:5]|, s90
	v_cmp_ge_f64_e64 vcc, |v[4:5]|, s[62:63]
	v_trig_preop_f64 v[42:43], |v[4:5]|, 0
	v_cndmask_b32_e32 v47, v3, v47, vcc
	v_cndmask_b32_e32 v46, v4, v46, vcc
	v_trig_preop_f64 v[44:45], |v[4:5]|, 1
	v_mul_f64 v[76:77], v[42:43], v[46:47]
	v_mul_f64 v[74:75], v[44:45], v[46:47]
	v_fma_f64 v[42:43], v[42:43], v[46:47], -v[76:77]
	v_add_f64 v[78:79], v[74:75], v[42:43]
	v_add_f64 v[80:81], v[76:77], v[78:79]
	v_ldexp_f64 v[82:83], v[80:81], -2
	v_fract_f64_e32 v[84:85], v[82:83]
	v_cmp_neq_f64_e64 vcc, |v[82:83]|, s[64:65]
	v_cndmask_b32_e32 v83, 0, v85, vcc
	v_cndmask_b32_e32 v82, 0, v84, vcc
	v_add_f64 v[84:85], v[78:79], -v[74:75]
	v_add_f64 v[42:43], v[42:43], -v[84:85]
	;; [unrolled: 1-line block ×4, first 2 shown]
	v_fma_f64 v[44:45], v[44:45], v[46:47], -v[74:75]
	v_trig_preop_f64 v[74:75], |v[4:5]|, 2
	v_add_f64 v[42:43], v[42:43], v[84:85]
	v_mul_f64 v[84:85], v[74:75], v[46:47]
	v_add_f64 v[86:87], v[84:85], v[44:45]
	v_add_f64 v[88:89], v[86:87], v[42:43]
	v_add_f64 v[76:77], v[80:81], -v[76:77]
	v_add_f64 v[80:81], v[88:89], -v[86:87]
	v_add_f64 v[42:43], v[42:43], -v[80:81]
	v_add_f64 v[80:81], v[88:89], -v[80:81]
	v_add_f64 v[80:81], v[86:87], -v[80:81]
	v_add_f64 v[42:43], v[42:43], v[80:81]
	v_add_f64 v[80:81], v[86:87], -v[84:85]
	v_add_f64 v[44:45], v[44:45], -v[80:81]
	;; [unrolled: 1-line block ×4, first 2 shown]
	v_add_f64 v[44:45], v[44:45], v[80:81]
	v_add_f64 v[76:77], v[78:79], -v[76:77]
	v_add_f64 v[42:43], v[44:45], v[42:43]
	v_fma_f64 v[44:45], v[74:75], v[46:47], -v[84:85]
	v_add_f64 v[78:79], v[76:77], v[88:89]
	v_add_f64 v[42:43], v[44:45], v[42:43]
	v_ldexp_f64 v[44:45], v[82:83], 2
	v_add_f64 v[46:47], v[78:79], v[44:45]
	v_cmp_gt_f64_e32 vcc, 0, v[46:47]
	v_cndmask_b32_e32 v11, 0, v69, vcc
	v_add_f64 v[44:45], v[44:45], v[10:11]
	v_add_f64 v[46:47], v[78:79], v[44:45]
	v_cvt_i32_f64_e32 v3, v[46:47]
	v_cvt_f64_i32_e32 v[46:47], v3
	v_add_f64 v[44:45], v[44:45], -v[46:47]
	v_add_f64 v[76:77], v[78:79], -v[76:77]
	v_add_f64 v[46:47], v[78:79], v[44:45]
	v_add_f64 v[76:77], v[88:89], -v[76:77]
	v_add_f64 v[44:45], v[46:47], -v[44:45]
	v_cmp_le_f64_e32 vcc, 0.5, v[46:47]
	v_add_f64 v[42:43], v[76:77], v[42:43]
	v_add_f64 v[44:45], v[78:79], -v[44:45]
	v_cndmask_b32_e32 v11, 0, v70, vcc
	v_add_f64 v[42:43], v[42:43], v[44:45]
	v_add_f64 v[44:45], v[46:47], -v[10:11]
	v_add_f64 v[46:47], v[44:45], v[42:43]
	v_add_f64 v[44:45], v[46:47], -v[44:45]
	s_mov_b32 s66, s58
	v_add_f64 v[42:43], v[42:43], -v[44:45]
	v_mul_f64 v[44:45], v[46:47], s[66:67]
	v_fma_f64 v[74:75], v[46:47], s[66:67], -v[44:45]
	s_mov_b32 s71, s69
	v_fmac_f64_e32 v[74:75], s[70:71], v[46:47]
	v_fmac_f64_e32 v[74:75], s[66:67], v[42:43]
	v_add_f64 v[42:43], v[44:45], v[74:75]
	v_add_f64 v[44:45], v[42:43], -v[44:45]
	v_addc_co_u32_e64 v3, s[0:1], 0, v3, vcc
	v_add_f64 v[44:45], v[74:75], -v[44:45]
.LBB3_56:                               ;   in Loop: Header=BB3_9 Depth=1
	s_andn2_saveexec_b64 s[0:1], s[2:3]
	s_cbranch_execz .LBB3_7
; %bb.57:                               ;   in Loop: Header=BB3_9 Depth=1
	v_mul_f64 v[42:43], |v[4:5]|, s[72:73]
	v_rndne_f64_e32 v[46:47], v[42:43]
	s_mov_b32 s74, s58
	v_fma_f64 v[42:43], v[46:47], s[74:75], |v[4:5]|
	v_mul_f64 v[74:75], v[46:47], s[76:77]
	v_add_f64 v[78:79], v[42:43], v[74:75]
	v_fma_f64 v[44:45], s[76:77], v[46:47], v[42:43]
	s_mov_b32 s68, s76
	v_add_f64 v[42:43], v[42:43], -v[78:79]
	v_fma_f64 v[76:77], s[68:69], v[46:47], v[74:75]
	v_add_f64 v[42:43], v[42:43], v[74:75]
	v_add_f64 v[74:75], v[78:79], -v[44:45]
	v_add_f64 v[42:43], v[74:75], v[42:43]
	v_add_f64 v[74:75], v[42:43], -v[76:77]
	v_fmac_f64_e32 v[74:75], s[78:79], v[46:47]
	v_add_f64 v[42:43], v[44:45], v[74:75]
	v_add_f64 v[44:45], v[42:43], -v[44:45]
	v_add_f64 v[44:45], v[74:75], -v[44:45]
	v_cvt_i32_f64_e32 v3, v[46:47]
	s_branch .LBB3_7
.LBB3_58:
	s_endpgm
.LBB3_59:
                                        ; implicit-def: $sgpr2_sgpr3
	s_andn2_b64 vcc, exec, s[0:1]
	s_cbranch_vccz .LBB3_4
	s_branch .LBB3_5
	.section	.rodata,"a",@progbits
	.p2align	6, 0x0
	.amdhsa_kernel _ZN2at6native12_GLOBAL__N_143distribution_elementwise_grid_stride_kernelIdLi2EZNS0_9templates4cuda21uniform_and_transformIddPNS_17CUDAGeneratorImplEZZZNS4_13cauchy_kernelIS7_EEvRNS_18TensorIteratorBaseEddT_ENKUlvE_clEvENKUlvE_clEvEUldE_EEvSA_T1_T2_EUlP25hiprandStatePhilox4_32_10E0_ZNS1_27distribution_nullary_kernelIdd15HIP_vector_typeIfLj4EES7_SJ_SE_EEvSA_SG_RKT3_T4_EUlidE0_EEvlNS_15PhiloxCudaStateESF_SG_
		.amdhsa_group_segment_fixed_size 0
		.amdhsa_private_segment_fixed_size 0
		.amdhsa_kernarg_size 592
		.amdhsa_user_sgpr_count 6
		.amdhsa_user_sgpr_private_segment_buffer 1
		.amdhsa_user_sgpr_dispatch_ptr 0
		.amdhsa_user_sgpr_queue_ptr 0
		.amdhsa_user_sgpr_kernarg_segment_ptr 1
		.amdhsa_user_sgpr_dispatch_id 0
		.amdhsa_user_sgpr_flat_scratch_init 0
		.amdhsa_user_sgpr_kernarg_preload_length 0
		.amdhsa_user_sgpr_kernarg_preload_offset 0
		.amdhsa_user_sgpr_private_segment_size 0
		.amdhsa_uses_dynamic_stack 0
		.amdhsa_system_sgpr_private_segment_wavefront_offset 0
		.amdhsa_system_sgpr_workgroup_id_x 1
		.amdhsa_system_sgpr_workgroup_id_y 0
		.amdhsa_system_sgpr_workgroup_id_z 0
		.amdhsa_system_sgpr_workgroup_info 0
		.amdhsa_system_vgpr_workitem_id 0
		.amdhsa_next_free_vgpr 92
		.amdhsa_next_free_sgpr 92
		.amdhsa_accum_offset 92
		.amdhsa_reserve_vcc 1
		.amdhsa_reserve_flat_scratch 0
		.amdhsa_float_round_mode_32 0
		.amdhsa_float_round_mode_16_64 0
		.amdhsa_float_denorm_mode_32 3
		.amdhsa_float_denorm_mode_16_64 3
		.amdhsa_dx10_clamp 1
		.amdhsa_ieee_mode 1
		.amdhsa_fp16_overflow 0
		.amdhsa_tg_split 0
		.amdhsa_exception_fp_ieee_invalid_op 0
		.amdhsa_exception_fp_denorm_src 0
		.amdhsa_exception_fp_ieee_div_zero 0
		.amdhsa_exception_fp_ieee_overflow 0
		.amdhsa_exception_fp_ieee_underflow 0
		.amdhsa_exception_fp_ieee_inexact 0
		.amdhsa_exception_int_div_zero 0
	.end_amdhsa_kernel
	.section	.text._ZN2at6native12_GLOBAL__N_143distribution_elementwise_grid_stride_kernelIdLi2EZNS0_9templates4cuda21uniform_and_transformIddPNS_17CUDAGeneratorImplEZZZNS4_13cauchy_kernelIS7_EEvRNS_18TensorIteratorBaseEddT_ENKUlvE_clEvENKUlvE_clEvEUldE_EEvSA_T1_T2_EUlP25hiprandStatePhilox4_32_10E0_ZNS1_27distribution_nullary_kernelIdd15HIP_vector_typeIfLj4EES7_SJ_SE_EEvSA_SG_RKT3_T4_EUlidE0_EEvlNS_15PhiloxCudaStateESF_SG_,"axG",@progbits,_ZN2at6native12_GLOBAL__N_143distribution_elementwise_grid_stride_kernelIdLi2EZNS0_9templates4cuda21uniform_and_transformIddPNS_17CUDAGeneratorImplEZZZNS4_13cauchy_kernelIS7_EEvRNS_18TensorIteratorBaseEddT_ENKUlvE_clEvENKUlvE_clEvEUldE_EEvSA_T1_T2_EUlP25hiprandStatePhilox4_32_10E0_ZNS1_27distribution_nullary_kernelIdd15HIP_vector_typeIfLj4EES7_SJ_SE_EEvSA_SG_RKT3_T4_EUlidE0_EEvlNS_15PhiloxCudaStateESF_SG_,comdat
.Lfunc_end3:
	.size	_ZN2at6native12_GLOBAL__N_143distribution_elementwise_grid_stride_kernelIdLi2EZNS0_9templates4cuda21uniform_and_transformIddPNS_17CUDAGeneratorImplEZZZNS4_13cauchy_kernelIS7_EEvRNS_18TensorIteratorBaseEddT_ENKUlvE_clEvENKUlvE_clEvEUldE_EEvSA_T1_T2_EUlP25hiprandStatePhilox4_32_10E0_ZNS1_27distribution_nullary_kernelIdd15HIP_vector_typeIfLj4EES7_SJ_SE_EEvSA_SG_RKT3_T4_EUlidE0_EEvlNS_15PhiloxCudaStateESF_SG_, .Lfunc_end3-_ZN2at6native12_GLOBAL__N_143distribution_elementwise_grid_stride_kernelIdLi2EZNS0_9templates4cuda21uniform_and_transformIddPNS_17CUDAGeneratorImplEZZZNS4_13cauchy_kernelIS7_EEvRNS_18TensorIteratorBaseEddT_ENKUlvE_clEvENKUlvE_clEvEUldE_EEvSA_T1_T2_EUlP25hiprandStatePhilox4_32_10E0_ZNS1_27distribution_nullary_kernelIdd15HIP_vector_typeIfLj4EES7_SJ_SE_EEvSA_SG_RKT3_T4_EUlidE0_EEvlNS_15PhiloxCudaStateESF_SG_
                                        ; -- End function
	.section	.AMDGPU.csdata,"",@progbits
; Kernel info:
; codeLenInByte = 6000
; NumSgprs: 96
; NumVgprs: 92
; NumAgprs: 0
; TotalNumVgprs: 92
; ScratchSize: 0
; MemoryBound: 0
; FloatMode: 240
; IeeeMode: 1
; LDSByteSize: 0 bytes/workgroup (compile time only)
; SGPRBlocks: 11
; VGPRBlocks: 11
; NumSGPRsForWavesPerEU: 96
; NumVGPRsForWavesPerEU: 92
; AccumOffset: 92
; Occupancy: 5
; WaveLimiterHint : 1
; COMPUTE_PGM_RSRC2:SCRATCH_EN: 0
; COMPUTE_PGM_RSRC2:USER_SGPR: 6
; COMPUTE_PGM_RSRC2:TRAP_HANDLER: 0
; COMPUTE_PGM_RSRC2:TGID_X_EN: 1
; COMPUTE_PGM_RSRC2:TGID_Y_EN: 0
; COMPUTE_PGM_RSRC2:TGID_Z_EN: 0
; COMPUTE_PGM_RSRC2:TIDIG_COMP_CNT: 0
; COMPUTE_PGM_RSRC3_GFX90A:ACCUM_OFFSET: 22
; COMPUTE_PGM_RSRC3_GFX90A:TG_SPLIT: 0
	.section	.text._ZN2at6native12_GLOBAL__N_143distribution_elementwise_grid_stride_kernelIfLi4EZNS0_9templates4cuda21uniform_and_transformIffPNS_17CUDAGeneratorImplEZZZNS4_13cauchy_kernelIS7_EEvRNS_18TensorIteratorBaseEddT_ENKUlvE_clEvENKUlvE0_clEvEUlfE_EEvSA_T1_T2_EUlP25hiprandStatePhilox4_32_10E_ZNS1_27distribution_nullary_kernelIff15HIP_vector_typeIdLj2EES7_SJ_SE_EEvSA_SG_RKT3_T4_EUlifE_EEvlNS_15PhiloxCudaStateESF_SG_,"axG",@progbits,_ZN2at6native12_GLOBAL__N_143distribution_elementwise_grid_stride_kernelIfLi4EZNS0_9templates4cuda21uniform_and_transformIffPNS_17CUDAGeneratorImplEZZZNS4_13cauchy_kernelIS7_EEvRNS_18TensorIteratorBaseEddT_ENKUlvE_clEvENKUlvE0_clEvEUlfE_EEvSA_T1_T2_EUlP25hiprandStatePhilox4_32_10E_ZNS1_27distribution_nullary_kernelIff15HIP_vector_typeIdLj2EES7_SJ_SE_EEvSA_SG_RKT3_T4_EUlifE_EEvlNS_15PhiloxCudaStateESF_SG_,comdat
	.globl	_ZN2at6native12_GLOBAL__N_143distribution_elementwise_grid_stride_kernelIfLi4EZNS0_9templates4cuda21uniform_and_transformIffPNS_17CUDAGeneratorImplEZZZNS4_13cauchy_kernelIS7_EEvRNS_18TensorIteratorBaseEddT_ENKUlvE_clEvENKUlvE0_clEvEUlfE_EEvSA_T1_T2_EUlP25hiprandStatePhilox4_32_10E_ZNS1_27distribution_nullary_kernelIff15HIP_vector_typeIdLj2EES7_SJ_SE_EEvSA_SG_RKT3_T4_EUlifE_EEvlNS_15PhiloxCudaStateESF_SG_ ; -- Begin function _ZN2at6native12_GLOBAL__N_143distribution_elementwise_grid_stride_kernelIfLi4EZNS0_9templates4cuda21uniform_and_transformIffPNS_17CUDAGeneratorImplEZZZNS4_13cauchy_kernelIS7_EEvRNS_18TensorIteratorBaseEddT_ENKUlvE_clEvENKUlvE0_clEvEUlfE_EEvSA_T1_T2_EUlP25hiprandStatePhilox4_32_10E_ZNS1_27distribution_nullary_kernelIff15HIP_vector_typeIdLj2EES7_SJ_SE_EEvSA_SG_RKT3_T4_EUlifE_EEvlNS_15PhiloxCudaStateESF_SG_
	.p2align	8
	.type	_ZN2at6native12_GLOBAL__N_143distribution_elementwise_grid_stride_kernelIfLi4EZNS0_9templates4cuda21uniform_and_transformIffPNS_17CUDAGeneratorImplEZZZNS4_13cauchy_kernelIS7_EEvRNS_18TensorIteratorBaseEddT_ENKUlvE_clEvENKUlvE0_clEvEUlfE_EEvSA_T1_T2_EUlP25hiprandStatePhilox4_32_10E_ZNS1_27distribution_nullary_kernelIff15HIP_vector_typeIdLj2EES7_SJ_SE_EEvSA_SG_RKT3_T4_EUlifE_EEvlNS_15PhiloxCudaStateESF_SG_,@function
_ZN2at6native12_GLOBAL__N_143distribution_elementwise_grid_stride_kernelIfLi4EZNS0_9templates4cuda21uniform_and_transformIffPNS_17CUDAGeneratorImplEZZZNS4_13cauchy_kernelIS7_EEvRNS_18TensorIteratorBaseEddT_ENKUlvE_clEvENKUlvE0_clEvEUlfE_EEvSA_T1_T2_EUlP25hiprandStatePhilox4_32_10E_ZNS1_27distribution_nullary_kernelIff15HIP_vector_typeIdLj2EES7_SJ_SE_EEvSA_SG_RKT3_T4_EUlifE_EEvlNS_15PhiloxCudaStateESF_SG_: ; @_ZN2at6native12_GLOBAL__N_143distribution_elementwise_grid_stride_kernelIfLi4EZNS0_9templates4cuda21uniform_and_transformIffPNS_17CUDAGeneratorImplEZZZNS4_13cauchy_kernelIS7_EEvRNS_18TensorIteratorBaseEddT_ENKUlvE_clEvENKUlvE0_clEvEUlfE_EEvSA_T1_T2_EUlP25hiprandStatePhilox4_32_10E_ZNS1_27distribution_nullary_kernelIff15HIP_vector_typeIdLj2EES7_SJ_SE_EEvSA_SG_RKT3_T4_EUlifE_EEvlNS_15PhiloxCudaStateESF_SG_
; %bb.0:
	s_load_dword s2, s[4:5], 0x20
	s_load_dwordx2 s[0:1], s[4:5], 0x10
	s_load_dwordx4 s[8:11], s[4:5], 0x0
	s_waitcnt lgkmcnt(0)
	s_bitcmp0_b32 s2, 0
	s_mov_b32 s2, 0
	v_pk_mov_b32 v[2:3], s[0:1], s[0:1] op_sel:[0,1]
	v_pk_mov_b32 v[12:13], s[10:11], s[10:11] op_sel:[0,1]
	s_cbranch_scc1 .LBB4_2
; %bb.1:
	v_pk_mov_b32 v[2:3], s[0:1], s[0:1] op_sel:[0,1]
	flat_load_dwordx2 v[2:3], v[2:3]
	v_pk_mov_b32 v[4:5], s[10:11], s[10:11] op_sel:[0,1]
	flat_load_dwordx2 v[12:13], v[4:5]
	s_load_dwordx2 s[0:1], s[4:5], 0x18
	s_waitcnt lgkmcnt(0)
	v_mov_b32_e32 v1, s1
	s_waitcnt vmcnt(0)
	v_add_co_u32_e32 v2, vcc, s0, v2
	v_addc_co_u32_e32 v3, vcc, v3, v1, vcc
.LBB4_2:
	s_load_dword s0, s[4:5], 0x54
	s_load_dword s18, s[4:5], 0x48
	s_waitcnt lgkmcnt(0)
	s_and_b32 s7, s0, 0xffff
	s_add_u32 s10, s8, -1
	s_mul_i32 s22, s18, s7
	s_addc_u32 s3, s9, -1
	s_lshl_b32 s23, s22, 2
	s_cmp_lg_u64 s[2:3], 0
	s_mov_b64 s[0:1], -1
	s_cbranch_scc0 .LBB4_31
; %bb.3:
	v_cvt_f32_u32_e32 v1, s23
	v_cvt_f32_ubyte0_e32 v4, 0
	s_sub_u32 s2, 0, s23
	s_subb_u32 s11, 0, 0
	v_madmk_f32 v1, v4, 0x4f800000, v1
	v_rcp_f32_e32 v1, v1
	v_mul_f32_e32 v1, 0x5f7ffffc, v1
	v_mul_f32_e32 v4, 0x2f800000, v1
	v_trunc_f32_e32 v4, v4
	v_madmk_f32 v1, v4, 0xcf800000, v1
	v_cvt_u32_f32_e32 v4, v4
	v_cvt_u32_f32_e32 v1, v1
	v_readfirstlane_b32 s12, v4
	v_readfirstlane_b32 s13, v1
	s_mul_i32 s14, s2, s12
	s_mul_hi_u32 s16, s2, s13
	s_mul_i32 s15, s11, s13
	s_add_i32 s14, s16, s14
	s_add_i32 s14, s14, s15
	s_mul_i32 s17, s2, s13
	s_mul_hi_u32 s15, s13, s14
	s_mul_i32 s16, s13, s14
	s_mul_hi_u32 s13, s13, s17
	s_add_u32 s13, s13, s16
	s_addc_u32 s15, 0, s15
	s_mul_hi_u32 s19, s12, s17
	s_mul_i32 s17, s12, s17
	s_add_u32 s13, s13, s17
	s_mul_hi_u32 s16, s12, s14
	s_addc_u32 s13, s15, s19
	s_addc_u32 s15, s16, 0
	s_mul_i32 s14, s12, s14
	s_add_u32 s13, s13, s14
	s_addc_u32 s14, 0, s15
	v_add_co_u32_e32 v1, vcc, s13, v1
	s_cmp_lg_u64 vcc, 0
	s_addc_u32 s12, s12, s14
	v_readfirstlane_b32 s14, v1
	s_mul_i32 s13, s2, s12
	s_mul_hi_u32 s15, s2, s14
	s_add_i32 s13, s15, s13
	s_mul_i32 s11, s11, s14
	s_add_i32 s13, s13, s11
	s_mul_i32 s2, s2, s14
	s_mul_hi_u32 s15, s12, s2
	s_mul_i32 s16, s12, s2
	s_mul_i32 s19, s14, s13
	s_mul_hi_u32 s2, s14, s2
	s_mul_hi_u32 s17, s14, s13
	s_add_u32 s2, s2, s19
	s_addc_u32 s14, 0, s17
	s_add_u32 s2, s2, s16
	s_mul_hi_u32 s11, s12, s13
	s_addc_u32 s2, s14, s15
	s_addc_u32 s11, s11, 0
	s_mul_i32 s13, s12, s13
	s_add_u32 s2, s2, s13
	s_addc_u32 s11, 0, s11
	v_add_co_u32_e32 v1, vcc, s2, v1
	s_cmp_lg_u64 vcc, 0
	s_addc_u32 s11, s12, s11
	s_ashr_i32 s12, s3, 31
	s_add_u32 s2, s10, s12
	s_mov_b32 s13, s12
	s_addc_u32 s3, s3, s12
	s_xor_b64 s[2:3], s[2:3], s[12:13]
	v_readfirstlane_b32 s16, v1
	s_mul_i32 s15, s2, s11
	s_mul_hi_u32 s17, s2, s16
	s_mul_hi_u32 s14, s2, s11
	s_add_u32 s15, s17, s15
	s_addc_u32 s14, 0, s14
	s_mul_hi_u32 s19, s3, s16
	s_mul_i32 s16, s3, s16
	s_add_u32 s15, s15, s16
	s_mul_hi_u32 s17, s3, s11
	s_addc_u32 s14, s14, s19
	s_addc_u32 s15, s17, 0
	s_mul_i32 s11, s3, s11
	s_add_u32 s11, s14, s11
	s_addc_u32 s14, 0, s15
	s_add_u32 s15, s11, 1
	s_addc_u32 s16, s14, 0
	s_add_u32 s17, s11, 2
	s_mul_i32 s20, s23, s14
	s_mul_hi_u32 s21, s23, s11
	s_addc_u32 s19, s14, 0
	s_add_i32 s21, s21, s20
	s_mul_i32 s20, s23, s11
	v_mov_b32_e32 v1, s20
	v_sub_co_u32_e32 v1, vcc, s2, v1
	s_cmp_lg_u64 vcc, 0
	s_subb_u32 s2, s3, s21
	v_subrev_co_u32_e32 v4, vcc, s23, v1
	s_cmp_lg_u64 vcc, 0
	s_subb_u32 s3, s2, 0
	v_readfirstlane_b32 s20, v4
	s_cmp_ge_u32 s20, s23
	s_cselect_b32 s20, -1, 0
	s_cmp_eq_u32 s3, 0
	s_cselect_b32 s3, s20, -1
	s_cmp_lg_u32 s3, 0
	s_cselect_b32 s3, s19, s16
	v_readfirstlane_b32 s16, v1
	s_cselect_b32 s15, s17, s15
	s_cmp_ge_u32 s16, s23
	s_cselect_b32 s16, -1, 0
	s_cmp_eq_u32 s2, 0
	s_cselect_b32 s2, s16, -1
	s_cmp_lg_u32 s2, 0
	s_cselect_b32 s3, s3, s14
	s_cselect_b32 s2, s15, s11
	s_xor_b64 s[2:3], s[2:3], s[12:13]
	s_sub_u32 s2, s2, s12
	s_subb_u32 s3, s3, s12
	s_cbranch_execnz .LBB4_5
.LBB4_4:
	v_cvt_f32_u32_e32 v1, s23
	s_sub_i32 s0, 0, s23
	s_mov_b32 s3, 0
	v_rcp_iflag_f32_e32 v1, v1
	v_mul_f32_e32 v1, 0x4f7ffffe, v1
	v_cvt_u32_f32_e32 v1, v1
	v_readfirstlane_b32 s1, v1
	s_mul_i32 s0, s0, s1
	s_mul_hi_u32 s0, s1, s0
	s_add_i32 s1, s1, s0
	s_mul_hi_u32 s0, s10, s1
	s_mul_i32 s2, s0, s23
	s_sub_i32 s2, s10, s2
	s_add_i32 s1, s0, 1
	s_sub_i32 s10, s2, s23
	s_cmp_ge_u32 s2, s23
	s_cselect_b32 s0, s1, s0
	s_cselect_b32 s2, s10, s2
	s_add_i32 s1, s0, 1
	s_cmp_ge_u32 s2, s23
	s_cselect_b32 s2, s1, s0
.LBB4_5:
	v_mov_b32_e32 v1, 0
	v_mov_b32_e32 v4, s6
	v_mad_u64_u32 v[14:15], s[0:1], s7, v4, v[0:1]
	s_add_u32 s0, s2, 1
	s_addc_u32 s1, s3, 0
	s_mul_hi_u32 s2, s18, s7
	s_mul_i32 s1, s22, s1
	s_mul_hi_u32 s3, s22, s0
	s_add_i32 s1, s3, s1
	s_mul_i32 s2, s2, s0
	s_add_i32 s1, s1, s2
	s_mul_i32 s0, s22, s0
	s_lshl_b64 s[10:11], s[0:1], 2
	v_cmp_gt_i64_e32 vcc, s[10:11], v[14:15]
	s_and_saveexec_b64 s[0:1], vcc
	s_cbranch_execz .LBB4_30
; %bb.6:
	s_mov_b32 s0, 0x5384540f
	v_mov_b32_e32 v4, v13
	v_add_co_u32_e32 v22, vcc, s0, v12
	s_mov_b32 s0, 0x646e171e
	v_add_co_u32_e32 v23, vcc, s0, v4
	s_mov_b32 s0, 0x1715609d
	v_add_co_u32_e32 v24, vcc, s0, v12
	s_mov_b32 s0, 0xed9eba14
	v_add_co_u32_e32 v25, vcc, s0, v4
	s_mov_b32 s0, 0xdaa66d2b
	v_add_co_u32_e32 v26, vcc, s0, v12
	s_mov_b32 s0, 0x76cf5d0a
	v_add_co_u32_e32 v27, vcc, s0, v4
	s_mov_b32 s0, 0x9e3779b9
	v_alignbit_b32 v29, v3, v2, 2
	s_mov_b32 s24, 0xd2511f53
	v_add_co_u32_e32 v28, vcc, s0, v12
	v_mad_u64_u32 v[6:7], s[0:1], v29, s24, 0
	v_and_b32_e32 v18, 3, v2
	v_xor_b32_e32 v2, v7, v13
	v_xor_b32_e32 v2, v2, v15
	s_mov_b32 s25, 0xcd9e8d57
	v_mad_u64_u32 v[8:9], s[0:1], v2, s25, 0
	v_xor_b32_e32 v2, v28, v9
	v_mad_u64_u32 v[10:11], s[0:1], v14, s25, 0
	v_xor_b32_e32 v2, v2, v10
	;; [unrolled: 2-line block ×3, first 2 shown]
	v_lshrrev_b32_e32 v30, 2, v3
	v_xor_b32_e32 v2, v2, v30
	v_xor_b32_e32 v5, v27, v17
	v_mad_u64_u32 v[2:3], s[0:1], v2, s24, 0
	v_xor_b32_e32 v2, v5, v2
	v_mad_u64_u32 v[10:11], s[0:1], v2, s25, 0
	s_mov_b32 s0, 0xbb67ae85
	v_add_co_u32_e32 v31, vcc, s0, v4
	v_xor_b32_e32 v2, v31, v3
	v_xor_b32_e32 v2, v2, v6
	v_xor_b32_e32 v5, v26, v11
	v_mad_u64_u32 v[2:3], s[0:1], v2, s25, 0
	v_xor_b32_e32 v2, v5, v2
	v_mad_u64_u32 v[6:7], s[0:1], v2, s24, 0
	s_mov_b32 s0, 0x3c6ef372
	v_add_co_u32_e32 v32, vcc, s0, v12
	v_xor_b32_e32 v2, v32, v3
	;; [unrolled: 8-line block ×6, first 2 shown]
	v_add_co_u32_e32 v21, vcc, 0xdb3d7428, v4
	v_xor_b32_e32 v2, v2, v8
	v_xor_b32_e32 v5, v21, v41
	v_mad_u64_u32 v[2:3], s[0:1], v2, s24, 0
	v_xor_b32_e32 v2, v5, v2
	v_mad_u64_u32 v[42:43], s[0:1], v2, s25, 0
	s_mov_b32 s0, 0x1fd5c5a3
	v_add_co_u32_e32 v37, vcc, s0, v4
	v_xor_b32_e32 v2, v37, v3
	v_xor_b32_e32 v2, v2, v16
	v_mad_u64_u32 v[2:3], s[0:1], v2, s25, 0
	s_mov_b32 s0, 0xf1bbcdc8
	v_add_u32_e32 v19, 0x8ff34781, v12
	v_xor_b32_e32 v2, v43, v2
	v_add_co_u32_e32 v38, vcc, s0, v12
	s_load_dwordx4 s[12:15], s[4:5], 0x38
	s_load_dwordx2 s[16:17], s[4:5], 0x30
	v_xor_b32_e32 v6, v19, v2
	v_xor_b32_e32 v2, v38, v3
	;; [unrolled: 1-line block ×3, first 2 shown]
	v_mad_u64_u32 v[2:3], s[0:1], v2, s24, 0
	s_mul_i32 s0, s6, s7
	v_mov_b32_e32 v9, v2
	v_add_u32_e32 v2, s0, v0
	s_waitcnt lgkmcnt(0)
	s_mul_i32 s0, s18, s12
	s_mul_i32 s0, s0, s7
	s_lshl_b32 s26, s0, 2
	s_add_i32 s0, s6, s18
	s_mul_i32 s0, s0, s7
	s_mov_b32 s15, 0
	v_add_u32_e32 v20, 0x96a522ad, v13
	v_xor_b32_e32 v3, v3, v40
	v_add_u32_e32 v0, s0, v0
	v_xor_b32_e32 v8, v20, v3
	v_mov_b32_e32 v7, v42
	v_mul_lo_u32 v39, s12, v2
	v_mul_lo_u32 v40, s12, v0
	s_mov_b64 s[6:7], 0
	s_mov_b32 s12, 0x3f7ffffe
	s_brev_b32 s27, 44
	s_brev_b32 s28, 18
	s_mov_b32 s29, 0xfe5163ab
	s_mov_b32 s30, 0x3c439041
	s_mov_b32 s31, 0xdb629599
	s_mov_b32 s33, 0xf534ddc0
	s_mov_b32 s34, 0xfc2757d1
	s_mov_b32 s35, 0x4e441529
	s_mov_b32 s36, 0xa2f9836e
	s_mov_b32 s37, 0x3fc90fda
	s_mov_b32 s38, 0x3f22f983
	s_mov_b32 s39, 0xbfc90fda
	v_mov_b32_e32 v41, 0x3f93f425
	s_movk_i32 s40, 0x1f8
	v_mov_b32_e32 v42, 0x3f7ffffe
	v_bfrev_b32_e32 v43, 44
	v_not_b32_e32 v44, 63
	v_not_b32_e32 v45, 31
	v_mov_b32_e32 v46, 0x7fc00000
	s_mov_b32 s41, s15
	v_mov_b32_e32 v47, v14
	v_mov_b32_e32 v48, v15
	s_branch .LBB4_9
.LBB4_7:                                ;   in Loop: Header=BB4_9 Depth=1
	s_or_b64 exec, exec, s[0:1]
	v_mul_f32_e32 v11, v0, v0
	v_mov_b32_e32 v17, 0xbf039337
	v_fmac_f32_e32 v17, 0x3c971480, v11
	v_fma_f32 v17, v11, v17, v41
	v_add_u32_e32 v8, s41, v40
	v_rcp_f32_e32 v17, v17
	v_ashrrev_i32_e32 v9, 31, v8
	v_mov_b32_e32 v10, s17
	v_add_co_u32_e32 v8, vcc, s16, v8
	v_addc_co_u32_e32 v9, vcc, v10, v9, vcc
	v_mov_b32_e32 v10, 0x3ec54587
	v_fmac_f32_e32 v10, 0xbc8cedd3, v11
	v_mul_f32_e32 v10, v10, v17
	v_mul_f32_e32 v10, v11, v10
	v_fma_f32 v11, v10, v0, v0
	v_rcp_f32_e32 v17, v11
	v_sub_f32_e32 v49, v11, v0
	v_fma_f32 v0, v10, v0, -v49
	v_and_b32_e32 v7, 1, v7
	v_fma_f32 v10, v11, -v17, 1.0
	v_fma_f32 v0, v0, -v17, v10
	v_fma_f32 v0, v0, -v17, -v17
	v_cmp_eq_u32_e32 vcc, 0, v7
	v_cndmask_b32_e32 v0, v0, v11, vcc
	v_xor_b32_e32 v6, v6, v5
	v_xor_b32_e32 v0, v6, v0
	v_cmp_class_f32_e64 vcc, v5, s40
	v_cndmask_b32_e32 v0, v46, v0, vcc
	v_mov_b32_e32 v5, s13
	v_fma_f32 v0, s14, v0, v5
	global_store_dword v[8:9], v0, off
.LBB4_8:                                ;   in Loop: Header=BB4_9 Depth=1
	s_or_b64 exec, exec, s[18:19]
	v_add_co_u32_e32 v14, vcc, s23, v14
	v_mov_b32_e32 v5, v16
	v_addc_co_u32_e32 v15, vcc, 0, v15, vcc
	s_add_i32 s41, s41, s26
	v_cmp_le_i64_e32 vcc, s[10:11], v[14:15]
	v_pk_mov_b32 v[8:9], v[4:5], v[4:5] op_sel:[0,1]
	s_or_b64 s[6:7], vcc, s[6:7]
	v_pk_mov_b32 v[6:7], v[2:3], v[2:3] op_sel:[0,1]
	s_barrier
	s_andn2_b64 exec, exec, s[6:7]
	s_cbranch_execz .LBB4_30
.LBB4_9:                                ; =>This Inner Loop Header: Depth=1
	v_add_co_u32_e32 v29, vcc, 1, v29
	v_cndmask_b32_e64 v0, 0, 1, vcc
	v_addc_co_u32_e32 v30, vcc, 0, v30, vcc
	v_cmp_eq_u32_e32 vcc, 0, v30
	v_cndmask_b32_e32 v0, 0, v0, vcc
	v_add_u32_e32 v47, v0, v47
	v_cmp_eq_u32_e32 vcc, 0, v47
	v_cndmask_b32_e32 v0, 0, v0, vcc
	v_mad_u64_u32 v[2:3], s[0:1], v29, s24, 0
	v_mad_u64_u32 v[4:5], s[0:1], v47, s25, 0
	v_add_u32_e32 v48, v0, v48
	v_xor_b32_e32 v0, v5, v12
	v_xor_b32_e32 v3, v3, v13
	v_xor_b32_e32 v0, v30, v0
	v_xor_b32_e32 v3, v48, v3
	v_mad_u64_u32 v[10:11], s[0:1], v0, s24, 0
	v_mad_u64_u32 v[16:17], s[0:1], v3, s25, 0
	v_xor_b32_e32 v0, v28, v17
	v_xor_b32_e32 v3, v31, v11
	v_xor_b32_e32 v0, v0, v4
	v_xor_b32_e32 v4, v3, v2
	v_mad_u64_u32 v[2:3], s[0:1], v0, s24, 0
	v_mad_u64_u32 v[4:5], s[0:1], v4, s25, 0
	;; [unrolled: 6-line block ×9, first 2 shown]
	v_xor_b32_e32 v0, v11, v2
	v_xor_b32_e32 v2, v19, v0
	;; [unrolled: 1-line block ×4, first 2 shown]
	v_mov_b32_e32 v3, v10
	v_mov_b32_e32 v4, v11
	v_cmp_lt_i32_e32 vcc, 1, v18
	s_and_saveexec_b64 s[0:1], vcc
	s_xor_b64 s[0:1], exec, s[0:1]
	s_cbranch_execnz .LBB4_12
; %bb.10:                               ;   in Loop: Header=BB4_9 Depth=1
	s_andn2_saveexec_b64 s[0:1], s[0:1]
	s_cbranch_execnz .LBB4_17
.LBB4_11:                               ;   in Loop: Header=BB4_9 Depth=1
	s_or_b64 exec, exec, s[0:1]
	v_cmp_gt_i64_e32 vcc, s[8:9], v[14:15]
	s_and_saveexec_b64 s[18:19], vcc
	s_cbranch_execnz .LBB4_20
	s_branch .LBB4_25
.LBB4_12:                               ;   in Loop: Header=BB4_9 Depth=1
	v_cmp_lt_i32_e32 vcc, 2, v18
	s_and_saveexec_b64 s[2:3], vcc
	s_xor_b64 s[2:3], exec, s[2:3]
; %bb.13:                               ;   in Loop: Header=BB4_9 Depth=1
	v_mov_b32_e32 v8, v9
	v_mov_b32_e32 v9, v2
	v_pk_mov_b32 v[6:7], v[8:9], v[8:9] op_sel:[0,1]
	v_pk_mov_b32 v[8:9], v[10:11], v[10:11] op_sel:[0,1]
                                        ; implicit-def: $vgpr10_vgpr11
; %bb.14:                               ;   in Loop: Header=BB4_9 Depth=1
	s_andn2_saveexec_b64 s[2:3], s[2:3]
; %bb.15:                               ;   in Loop: Header=BB4_9 Depth=1
	v_mov_b32_e32 v6, v8
	v_mov_b32_e32 v7, v9
	;; [unrolled: 1-line block ×4, first 2 shown]
; %bb.16:                               ;   in Loop: Header=BB4_9 Depth=1
	s_or_b64 exec, exec, s[2:3]
	s_andn2_saveexec_b64 s[0:1], s[0:1]
	s_cbranch_execz .LBB4_11
.LBB4_17:                               ;   in Loop: Header=BB4_9 Depth=1
	v_cmp_eq_u32_e32 vcc, 1, v18
	s_and_saveexec_b64 s[2:3], vcc
; %bb.18:                               ;   in Loop: Header=BB4_9 Depth=1
	v_mov_b32_e32 v6, v7
	v_mov_b32_e32 v7, v8
	;; [unrolled: 1-line block ×4, first 2 shown]
; %bb.19:                               ;   in Loop: Header=BB4_9 Depth=1
	s_or_b64 exec, exec, s[2:3]
	s_or_b64 exec, exec, s[0:1]
	v_cmp_gt_i64_e32 vcc, s[8:9], v[14:15]
	s_and_saveexec_b64 s[18:19], vcc
	s_cbranch_execz .LBB4_25
.LBB4_20:                               ;   in Loop: Header=BB4_9 Depth=1
	v_lshrrev_b32_e32 v0, 11, v7
	v_cvt_f64_u32_e32 v[10:11], v0
	v_ldexp_f64 v[10:11], v[10:11], 32
	v_cvt_f64_u32_e32 v[6:7], v6
	v_add_f64 v[6:7], v[10:11], v[6:7]
	v_mov_b32_e32 v10, 0
	v_mov_b32_e32 v11, 0x3ca00000
	v_fmac_f64_e32 v[10:11], 0x3ca00000, v[6:7]
	v_cvt_f32_f64_e32 v0, v[10:11]
	v_cmp_nlt_f32_e32 vcc, s12, v0
	v_cndmask_b32_e32 v0, v42, v0, vcc
	v_cmp_ngt_f32_e32 vcc, s27, v0
	v_cndmask_b32_e32 v0, v43, v0, vcc
	v_add_f32_e32 v0, -0.5, v0
	v_mul_f32_e32 v5, 0x40490fdb, v0
	v_and_b32_e32 v6, 0x7fffffff, v5
	v_cmp_nlt_f32_e64 s[0:1], |v5|, s28
                                        ; implicit-def: $vgpr7
                                        ; implicit-def: $vgpr0
	s_and_saveexec_b64 s[2:3], s[0:1]
	s_xor_b64 s[20:21], exec, s[2:3]
	s_cbranch_execz .LBB4_22
; %bb.21:                               ;   in Loop: Header=BB4_9 Depth=1
	v_lshrrev_b32_e32 v0, 23, v6
	v_add_u32_e32 v0, 0xffffff88, v0
	v_cmp_lt_u32_e32 vcc, 63, v0
	v_cndmask_b32_e32 v7, 0, v44, vcc
	v_add_u32_e32 v0, v7, v0
	v_cmp_lt_u32_e64 s[0:1], 31, v0
	v_cndmask_b32_e64 v7, 0, v45, s[0:1]
	v_add_u32_e32 v0, v7, v0
	v_cmp_lt_u32_e64 s[2:3], 31, v0
	v_cndmask_b32_e64 v7, 0, v45, s[2:3]
	v_add_u32_e32 v7, v7, v0
	v_and_b32_e32 v0, 0x7fffff, v6
	v_or_b32_e32 v17, 0x800000, v0
	v_mad_u64_u32 v[10:11], s[4:5], v17, s29, 0
	v_mov_b32_e32 v0, v11
	v_mad_u64_u32 v[50:51], s[4:5], v17, s30, v[0:1]
	v_mov_b32_e32 v0, v51
	;; [unrolled: 2-line block ×6, first 2 shown]
	v_mad_u64_u32 v[60:61], s[4:5], v17, s36, v[0:1]
	v_cndmask_b32_e32 v11, v58, v54, vcc
	v_cndmask_b32_e32 v0, v60, v56, vcc
	;; [unrolled: 1-line block ×3, first 2 shown]
	v_cndmask_b32_e64 v17, v0, v11, s[0:1]
	v_cndmask_b32_e64 v0, v49, v0, s[0:1]
	v_cndmask_b32_e32 v49, v56, v52, vcc
	v_cndmask_b32_e64 v11, v11, v49, s[0:1]
	v_cndmask_b32_e64 v0, v0, v17, s[2:3]
	;; [unrolled: 1-line block ×3, first 2 shown]
	v_sub_u32_e32 v51, 32, v7
	v_alignbit_b32 v53, v0, v17, v51
	v_cmp_eq_u32_e64 s[4:5], 0, v7
	v_cndmask_b32_e64 v7, v53, v0, s[4:5]
	v_cndmask_b32_e32 v0, v54, v50, vcc
	v_cndmask_b32_e64 v49, v49, v0, s[0:1]
	v_cndmask_b32_e64 v11, v11, v49, s[2:3]
	v_cndmask_b32_e32 v10, v52, v10, vcc
	v_alignbit_b32 v50, v17, v11, v51
	v_cndmask_b32_e64 v0, v0, v10, s[0:1]
	v_cndmask_b32_e64 v17, v50, v17, s[4:5]
	v_bfe_u32 v54, v7, 29, 1
	v_cndmask_b32_e64 v0, v49, v0, s[2:3]
	v_alignbit_b32 v50, v7, v17, 30
	v_sub_u32_e32 v55, 0, v54
	v_alignbit_b32 v10, v11, v0, v51
	v_xor_b32_e32 v56, v50, v55
	v_cndmask_b32_e64 v10, v10, v11, s[4:5]
	v_alignbit_b32 v11, v17, v10, 30
	v_ffbh_u32_e32 v17, v56
	v_add_u32_e32 v17, 1, v17
	v_cmp_ne_u32_e32 vcc, v50, v55
	v_cndmask_b32_e32 v17, 33, v17, vcc
	v_alignbit_b32 v0, v10, v0, 30
	v_xor_b32_e32 v11, v11, v55
	v_sub_u32_e32 v49, 32, v17
	v_xor_b32_e32 v0, v0, v55
	v_alignbit_b32 v50, v56, v11, v49
	v_alignbit_b32 v0, v11, v0, v49
	;; [unrolled: 1-line block ×3, first 2 shown]
	v_ffbh_u32_e32 v11, v10
	v_min_u32_e32 v11, 32, v11
	v_lshrrev_b32_e32 v53, 29, v7
	v_sub_u32_e32 v49, 31, v11
	v_alignbit_b32 v0, v10, v0, v49
	v_lshlrev_b32_e32 v10, 31, v53
	v_or_b32_e32 v49, 0x33800000, v10
	v_add_lshl_u32 v11, v11, v17, 23
	v_lshrrev_b32_e32 v0, 9, v0
	v_sub_u32_e32 v11, v49, v11
	v_or_b32_e32 v0, v11, v0
	v_alignbit_b32 v11, v17, v50, 9
	v_or_b32_e32 v10, v11, v10
	v_xor_b32_e32 v10, 1.0, v10
	v_mul_f32_e32 v11, 0x3fc90fda, v10
	v_fma_f32 v17, v10, s37, -v11
	v_fmac_f32_e32 v17, 0x33a22168, v10
	v_fmac_f32_e32 v17, 0x3fc90fda, v0
	v_lshrrev_b32_e32 v7, 30, v7
	v_add_f32_e32 v0, v11, v17
	v_add_u32_e32 v7, v54, v7
.LBB4_22:                               ;   in Loop: Header=BB4_9 Depth=1
	s_andn2_saveexec_b64 s[0:1], s[20:21]
; %bb.23:                               ;   in Loop: Header=BB4_9 Depth=1
	v_mul_f32_e64 v0, |v5|, s38
	v_rndne_f32_e32 v10, v0
	v_cvt_i32_f32_e32 v7, v10
	v_fma_f32 v0, v10, s39, |v5|
	v_fmac_f32_e32 v0, 0xb3a22168, v10
	v_fmac_f32_e32 v0, 0xa7c234c4, v10
; %bb.24:                               ;   in Loop: Header=BB4_9 Depth=1
	s_or_b64 exec, exec, s[0:1]
	v_mul_f32_e32 v49, v0, v0
	v_mov_b32_e32 v50, 0xbf039337
	v_fmac_f32_e32 v50, 0x3c971480, v49
	v_fma_f32 v50, v49, v50, v41
	v_add_u32_e32 v10, s41, v39
	v_rcp_f32_e32 v50, v50
	v_ashrrev_i32_e32 v11, 31, v10
	v_mov_b32_e32 v17, s17
	v_add_co_u32_e32 v10, vcc, s16, v10
	v_addc_co_u32_e32 v11, vcc, v17, v11, vcc
	v_mov_b32_e32 v17, 0x3ec54587
	v_fmac_f32_e32 v17, 0xbc8cedd3, v49
	v_mul_f32_e32 v17, v17, v50
	v_mul_f32_e32 v17, v49, v17
	v_fma_f32 v49, v17, v0, v0
	v_rcp_f32_e32 v50, v49
	v_sub_f32_e32 v51, v49, v0
	v_fma_f32 v0, v17, v0, -v51
	v_and_b32_e32 v7, 1, v7
	v_fma_f32 v17, v49, -v50, 1.0
	v_fma_f32 v0, v0, -v50, v17
	v_fma_f32 v0, v0, -v50, -v50
	v_cmp_eq_u32_e32 vcc, 0, v7
	v_cndmask_b32_e32 v0, v0, v49, vcc
	v_xor_b32_e32 v6, v6, v5
	v_xor_b32_e32 v0, v6, v0
	v_cmp_class_f32_e64 vcc, v5, s40
	v_cndmask_b32_e32 v0, v46, v0, vcc
	v_mov_b32_e32 v5, s13
	v_fma_f32 v0, s14, v0, v5
	global_store_dword v[10:11], v0, off
.LBB4_25:                               ;   in Loop: Header=BB4_9 Depth=1
	s_or_b64 exec, exec, s[18:19]
	v_mov_b32_e32 v0, s15
	v_add_co_u32_e32 v6, vcc, s22, v14
	v_addc_co_u32_e32 v7, vcc, v0, v15, vcc
	v_cmp_gt_i64_e32 vcc, s[8:9], v[6:7]
	s_and_saveexec_b64 s[18:19], vcc
	s_cbranch_execz .LBB4_8
; %bb.26:                               ;   in Loop: Header=BB4_9 Depth=1
	v_lshrrev_b32_e32 v0, 11, v9
	v_cvt_f64_u32_e32 v[6:7], v0
	v_ldexp_f64 v[6:7], v[6:7], 32
	v_cvt_f64_u32_e32 v[8:9], v8
	v_add_f64 v[6:7], v[6:7], v[8:9]
	v_mov_b32_e32 v8, 0
	v_mov_b32_e32 v9, 0x3ca00000
	v_fmac_f64_e32 v[8:9], 0x3ca00000, v[6:7]
	v_cvt_f32_f64_e32 v0, v[8:9]
	v_cmp_nlt_f32_e32 vcc, s12, v0
	v_cndmask_b32_e32 v0, v42, v0, vcc
	v_cmp_ngt_f32_e32 vcc, s27, v0
	v_cndmask_b32_e32 v0, v43, v0, vcc
	v_add_f32_e32 v0, -0.5, v0
	v_mul_f32_e32 v5, 0x40490fdb, v0
	v_and_b32_e32 v6, 0x7fffffff, v5
	v_cmp_nlt_f32_e64 s[0:1], |v5|, s28
                                        ; implicit-def: $vgpr7
                                        ; implicit-def: $vgpr0
	s_and_saveexec_b64 s[2:3], s[0:1]
	s_xor_b64 s[20:21], exec, s[2:3]
	s_cbranch_execz .LBB4_28
; %bb.27:                               ;   in Loop: Header=BB4_9 Depth=1
	v_lshrrev_b32_e32 v0, 23, v6
	v_add_u32_e32 v0, 0xffffff88, v0
	v_cmp_lt_u32_e32 vcc, 63, v0
	v_cndmask_b32_e32 v7, 0, v44, vcc
	v_add_u32_e32 v0, v7, v0
	v_cmp_lt_u32_e64 s[0:1], 31, v0
	v_cndmask_b32_e64 v7, 0, v45, s[0:1]
	v_add_u32_e32 v0, v7, v0
	v_cmp_lt_u32_e64 s[2:3], 31, v0
	v_cndmask_b32_e64 v7, 0, v45, s[2:3]
	v_add_u32_e32 v7, v7, v0
	v_and_b32_e32 v0, 0x7fffff, v6
	v_or_b32_e32 v17, 0x800000, v0
	v_mad_u64_u32 v[8:9], s[4:5], v17, s29, 0
	v_mov_b32_e32 v0, v9
	v_mad_u64_u32 v[10:11], s[4:5], v17, s30, v[0:1]
	v_mov_b32_e32 v0, v11
	;; [unrolled: 2-line block ×6, first 2 shown]
	v_mad_u64_u32 v[58:59], s[4:5], v17, s36, v[0:1]
	v_cndmask_b32_e32 v9, v56, v52, vcc
	v_cndmask_b32_e32 v0, v58, v54, vcc
	;; [unrolled: 1-line block ×3, first 2 shown]
	v_cndmask_b32_e64 v11, v0, v9, s[0:1]
	v_cndmask_b32_e64 v0, v17, v0, s[0:1]
	v_cndmask_b32_e32 v17, v54, v50, vcc
	v_cndmask_b32_e64 v9, v9, v17, s[0:1]
	v_cndmask_b32_e64 v0, v0, v11, s[2:3]
	;; [unrolled: 1-line block ×3, first 2 shown]
	v_sub_u32_e32 v49, 32, v7
	v_alignbit_b32 v51, v0, v11, v49
	v_cmp_eq_u32_e64 s[4:5], 0, v7
	v_cndmask_b32_e64 v7, v51, v0, s[4:5]
	v_cndmask_b32_e32 v0, v52, v10, vcc
	v_cndmask_b32_e64 v10, v17, v0, s[0:1]
	v_cndmask_b32_e64 v9, v9, v10, s[2:3]
	v_alignbit_b32 v17, v11, v9, v49
	v_cndmask_b32_e64 v11, v17, v11, s[4:5]
	v_bfe_u32 v52, v7, 29, 1
	v_cndmask_b32_e32 v8, v50, v8, vcc
	v_alignbit_b32 v17, v7, v11, 30
	v_sub_u32_e32 v53, 0, v52
	v_cndmask_b32_e64 v0, v0, v8, s[0:1]
	v_xor_b32_e32 v54, v17, v53
	v_cndmask_b32_e64 v0, v10, v0, s[2:3]
	v_alignbit_b32 v8, v9, v0, v49
	v_ffbh_u32_e32 v10, v54
	v_cndmask_b32_e64 v8, v8, v9, s[4:5]
	v_add_u32_e32 v10, 1, v10
	v_cmp_ne_u32_e32 vcc, v17, v53
	v_alignbit_b32 v9, v11, v8, 30
	v_cndmask_b32_e32 v10, 33, v10, vcc
	v_alignbit_b32 v0, v8, v0, 30
	v_xor_b32_e32 v9, v9, v53
	v_sub_u32_e32 v11, 32, v10
	v_xor_b32_e32 v0, v0, v53
	v_alignbit_b32 v17, v54, v9, v11
	v_alignbit_b32 v0, v9, v0, v11
	;; [unrolled: 1-line block ×3, first 2 shown]
	v_ffbh_u32_e32 v9, v8
	v_min_u32_e32 v9, 32, v9
	v_lshrrev_b32_e32 v51, 29, v7
	v_sub_u32_e32 v11, 31, v9
	v_alignbit_b32 v0, v8, v0, v11
	v_lshlrev_b32_e32 v8, 31, v51
	v_or_b32_e32 v11, 0x33800000, v8
	v_add_lshl_u32 v9, v9, v10, 23
	v_lshrrev_b32_e32 v0, 9, v0
	v_sub_u32_e32 v9, v11, v9
	v_or_b32_e32 v0, v9, v0
	v_alignbit_b32 v9, v10, v17, 9
	v_or_b32_e32 v8, v9, v8
	v_xor_b32_e32 v8, 1.0, v8
	v_mul_f32_e32 v9, 0x3fc90fda, v8
	v_fma_f32 v10, v8, s37, -v9
	v_fmac_f32_e32 v10, 0x33a22168, v8
	v_fmac_f32_e32 v10, 0x3fc90fda, v0
	v_lshrrev_b32_e32 v7, 30, v7
	v_add_f32_e32 v0, v9, v10
	v_add_u32_e32 v7, v52, v7
.LBB4_28:                               ;   in Loop: Header=BB4_9 Depth=1
	s_andn2_saveexec_b64 s[0:1], s[20:21]
	s_cbranch_execz .LBB4_7
; %bb.29:                               ;   in Loop: Header=BB4_9 Depth=1
	v_mul_f32_e64 v0, |v5|, s38
	v_rndne_f32_e32 v8, v0
	v_cvt_i32_f32_e32 v7, v8
	v_fma_f32 v0, v8, s39, |v5|
	v_fmac_f32_e32 v0, 0xb3a22168, v8
	v_fmac_f32_e32 v0, 0xa7c234c4, v8
	s_branch .LBB4_7
.LBB4_30:
	s_endpgm
.LBB4_31:
                                        ; implicit-def: $sgpr2_sgpr3
	s_andn2_b64 vcc, exec, s[0:1]
	s_cbranch_vccz .LBB4_4
	s_branch .LBB4_5
	.section	.rodata,"a",@progbits
	.p2align	6, 0x0
	.amdhsa_kernel _ZN2at6native12_GLOBAL__N_143distribution_elementwise_grid_stride_kernelIfLi4EZNS0_9templates4cuda21uniform_and_transformIffPNS_17CUDAGeneratorImplEZZZNS4_13cauchy_kernelIS7_EEvRNS_18TensorIteratorBaseEddT_ENKUlvE_clEvENKUlvE0_clEvEUlfE_EEvSA_T1_T2_EUlP25hiprandStatePhilox4_32_10E_ZNS1_27distribution_nullary_kernelIff15HIP_vector_typeIdLj2EES7_SJ_SE_EEvSA_SG_RKT3_T4_EUlifE_EEvlNS_15PhiloxCudaStateESF_SG_
		.amdhsa_group_segment_fixed_size 0
		.amdhsa_private_segment_fixed_size 0
		.amdhsa_kernarg_size 328
		.amdhsa_user_sgpr_count 6
		.amdhsa_user_sgpr_private_segment_buffer 1
		.amdhsa_user_sgpr_dispatch_ptr 0
		.amdhsa_user_sgpr_queue_ptr 0
		.amdhsa_user_sgpr_kernarg_segment_ptr 1
		.amdhsa_user_sgpr_dispatch_id 0
		.amdhsa_user_sgpr_flat_scratch_init 0
		.amdhsa_user_sgpr_kernarg_preload_length 0
		.amdhsa_user_sgpr_kernarg_preload_offset 0
		.amdhsa_user_sgpr_private_segment_size 0
		.amdhsa_uses_dynamic_stack 0
		.amdhsa_system_sgpr_private_segment_wavefront_offset 0
		.amdhsa_system_sgpr_workgroup_id_x 1
		.amdhsa_system_sgpr_workgroup_id_y 0
		.amdhsa_system_sgpr_workgroup_id_z 0
		.amdhsa_system_sgpr_workgroup_info 0
		.amdhsa_system_vgpr_workitem_id 0
		.amdhsa_next_free_vgpr 62
		.amdhsa_next_free_sgpr 42
		.amdhsa_accum_offset 64
		.amdhsa_reserve_vcc 1
		.amdhsa_reserve_flat_scratch 0
		.amdhsa_float_round_mode_32 0
		.amdhsa_float_round_mode_16_64 0
		.amdhsa_float_denorm_mode_32 3
		.amdhsa_float_denorm_mode_16_64 3
		.amdhsa_dx10_clamp 1
		.amdhsa_ieee_mode 1
		.amdhsa_fp16_overflow 0
		.amdhsa_tg_split 0
		.amdhsa_exception_fp_ieee_invalid_op 0
		.amdhsa_exception_fp_denorm_src 0
		.amdhsa_exception_fp_ieee_div_zero 0
		.amdhsa_exception_fp_ieee_overflow 0
		.amdhsa_exception_fp_ieee_underflow 0
		.amdhsa_exception_fp_ieee_inexact 0
		.amdhsa_exception_int_div_zero 0
	.end_amdhsa_kernel
	.section	.text._ZN2at6native12_GLOBAL__N_143distribution_elementwise_grid_stride_kernelIfLi4EZNS0_9templates4cuda21uniform_and_transformIffPNS_17CUDAGeneratorImplEZZZNS4_13cauchy_kernelIS7_EEvRNS_18TensorIteratorBaseEddT_ENKUlvE_clEvENKUlvE0_clEvEUlfE_EEvSA_T1_T2_EUlP25hiprandStatePhilox4_32_10E_ZNS1_27distribution_nullary_kernelIff15HIP_vector_typeIdLj2EES7_SJ_SE_EEvSA_SG_RKT3_T4_EUlifE_EEvlNS_15PhiloxCudaStateESF_SG_,"axG",@progbits,_ZN2at6native12_GLOBAL__N_143distribution_elementwise_grid_stride_kernelIfLi4EZNS0_9templates4cuda21uniform_and_transformIffPNS_17CUDAGeneratorImplEZZZNS4_13cauchy_kernelIS7_EEvRNS_18TensorIteratorBaseEddT_ENKUlvE_clEvENKUlvE0_clEvEUlfE_EEvSA_T1_T2_EUlP25hiprandStatePhilox4_32_10E_ZNS1_27distribution_nullary_kernelIff15HIP_vector_typeIdLj2EES7_SJ_SE_EEvSA_SG_RKT3_T4_EUlifE_EEvlNS_15PhiloxCudaStateESF_SG_,comdat
.Lfunc_end4:
	.size	_ZN2at6native12_GLOBAL__N_143distribution_elementwise_grid_stride_kernelIfLi4EZNS0_9templates4cuda21uniform_and_transformIffPNS_17CUDAGeneratorImplEZZZNS4_13cauchy_kernelIS7_EEvRNS_18TensorIteratorBaseEddT_ENKUlvE_clEvENKUlvE0_clEvEUlfE_EEvSA_T1_T2_EUlP25hiprandStatePhilox4_32_10E_ZNS1_27distribution_nullary_kernelIff15HIP_vector_typeIdLj2EES7_SJ_SE_EEvSA_SG_RKT3_T4_EUlifE_EEvlNS_15PhiloxCudaStateESF_SG_, .Lfunc_end4-_ZN2at6native12_GLOBAL__N_143distribution_elementwise_grid_stride_kernelIfLi4EZNS0_9templates4cuda21uniform_and_transformIffPNS_17CUDAGeneratorImplEZZZNS4_13cauchy_kernelIS7_EEvRNS_18TensorIteratorBaseEddT_ENKUlvE_clEvENKUlvE0_clEvEUlfE_EEvSA_T1_T2_EUlP25hiprandStatePhilox4_32_10E_ZNS1_27distribution_nullary_kernelIff15HIP_vector_typeIdLj2EES7_SJ_SE_EEvSA_SG_RKT3_T4_EUlifE_EEvlNS_15PhiloxCudaStateESF_SG_
                                        ; -- End function
	.section	.AMDGPU.csdata,"",@progbits
; Kernel info:
; codeLenInByte = 3956
; NumSgprs: 46
; NumVgprs: 62
; NumAgprs: 0
; TotalNumVgprs: 62
; ScratchSize: 0
; MemoryBound: 0
; FloatMode: 240
; IeeeMode: 1
; LDSByteSize: 0 bytes/workgroup (compile time only)
; SGPRBlocks: 5
; VGPRBlocks: 7
; NumSGPRsForWavesPerEU: 46
; NumVGPRsForWavesPerEU: 62
; AccumOffset: 64
; Occupancy: 8
; WaveLimiterHint : 0
; COMPUTE_PGM_RSRC2:SCRATCH_EN: 0
; COMPUTE_PGM_RSRC2:USER_SGPR: 6
; COMPUTE_PGM_RSRC2:TRAP_HANDLER: 0
; COMPUTE_PGM_RSRC2:TGID_X_EN: 1
; COMPUTE_PGM_RSRC2:TGID_Y_EN: 0
; COMPUTE_PGM_RSRC2:TGID_Z_EN: 0
; COMPUTE_PGM_RSRC2:TIDIG_COMP_CNT: 0
; COMPUTE_PGM_RSRC3_GFX90A:ACCUM_OFFSET: 15
; COMPUTE_PGM_RSRC3_GFX90A:TG_SPLIT: 0
	.section	.text._ZN2at6native12_GLOBAL__N_143distribution_elementwise_grid_stride_kernelIfLi4EZNS0_9templates4cuda21uniform_and_transformIffPNS_17CUDAGeneratorImplEZZZNS4_13cauchy_kernelIS7_EEvRNS_18TensorIteratorBaseEddT_ENKUlvE_clEvENKUlvE0_clEvEUlfE_EEvSA_T1_T2_EUlP25hiprandStatePhilox4_32_10E_ZNS1_27distribution_nullary_kernelIff15HIP_vector_typeIdLj2EES7_SJ_SE_EEvSA_SG_RKT3_T4_EUlifE0_EEvlNS_15PhiloxCudaStateESF_SG_,"axG",@progbits,_ZN2at6native12_GLOBAL__N_143distribution_elementwise_grid_stride_kernelIfLi4EZNS0_9templates4cuda21uniform_and_transformIffPNS_17CUDAGeneratorImplEZZZNS4_13cauchy_kernelIS7_EEvRNS_18TensorIteratorBaseEddT_ENKUlvE_clEvENKUlvE0_clEvEUlfE_EEvSA_T1_T2_EUlP25hiprandStatePhilox4_32_10E_ZNS1_27distribution_nullary_kernelIff15HIP_vector_typeIdLj2EES7_SJ_SE_EEvSA_SG_RKT3_T4_EUlifE0_EEvlNS_15PhiloxCudaStateESF_SG_,comdat
	.globl	_ZN2at6native12_GLOBAL__N_143distribution_elementwise_grid_stride_kernelIfLi4EZNS0_9templates4cuda21uniform_and_transformIffPNS_17CUDAGeneratorImplEZZZNS4_13cauchy_kernelIS7_EEvRNS_18TensorIteratorBaseEddT_ENKUlvE_clEvENKUlvE0_clEvEUlfE_EEvSA_T1_T2_EUlP25hiprandStatePhilox4_32_10E_ZNS1_27distribution_nullary_kernelIff15HIP_vector_typeIdLj2EES7_SJ_SE_EEvSA_SG_RKT3_T4_EUlifE0_EEvlNS_15PhiloxCudaStateESF_SG_ ; -- Begin function _ZN2at6native12_GLOBAL__N_143distribution_elementwise_grid_stride_kernelIfLi4EZNS0_9templates4cuda21uniform_and_transformIffPNS_17CUDAGeneratorImplEZZZNS4_13cauchy_kernelIS7_EEvRNS_18TensorIteratorBaseEddT_ENKUlvE_clEvENKUlvE0_clEvEUlfE_EEvSA_T1_T2_EUlP25hiprandStatePhilox4_32_10E_ZNS1_27distribution_nullary_kernelIff15HIP_vector_typeIdLj2EES7_SJ_SE_EEvSA_SG_RKT3_T4_EUlifE0_EEvlNS_15PhiloxCudaStateESF_SG_
	.p2align	8
	.type	_ZN2at6native12_GLOBAL__N_143distribution_elementwise_grid_stride_kernelIfLi4EZNS0_9templates4cuda21uniform_and_transformIffPNS_17CUDAGeneratorImplEZZZNS4_13cauchy_kernelIS7_EEvRNS_18TensorIteratorBaseEddT_ENKUlvE_clEvENKUlvE0_clEvEUlfE_EEvSA_T1_T2_EUlP25hiprandStatePhilox4_32_10E_ZNS1_27distribution_nullary_kernelIff15HIP_vector_typeIdLj2EES7_SJ_SE_EEvSA_SG_RKT3_T4_EUlifE0_EEvlNS_15PhiloxCudaStateESF_SG_,@function
_ZN2at6native12_GLOBAL__N_143distribution_elementwise_grid_stride_kernelIfLi4EZNS0_9templates4cuda21uniform_and_transformIffPNS_17CUDAGeneratorImplEZZZNS4_13cauchy_kernelIS7_EEvRNS_18TensorIteratorBaseEddT_ENKUlvE_clEvENKUlvE0_clEvEUlfE_EEvSA_T1_T2_EUlP25hiprandStatePhilox4_32_10E_ZNS1_27distribution_nullary_kernelIff15HIP_vector_typeIdLj2EES7_SJ_SE_EEvSA_SG_RKT3_T4_EUlifE0_EEvlNS_15PhiloxCudaStateESF_SG_: ; @_ZN2at6native12_GLOBAL__N_143distribution_elementwise_grid_stride_kernelIfLi4EZNS0_9templates4cuda21uniform_and_transformIffPNS_17CUDAGeneratorImplEZZZNS4_13cauchy_kernelIS7_EEvRNS_18TensorIteratorBaseEddT_ENKUlvE_clEvENKUlvE0_clEvEUlfE_EEvSA_T1_T2_EUlP25hiprandStatePhilox4_32_10E_ZNS1_27distribution_nullary_kernelIff15HIP_vector_typeIdLj2EES7_SJ_SE_EEvSA_SG_RKT3_T4_EUlifE0_EEvlNS_15PhiloxCudaStateESF_SG_
; %bb.0:
	s_load_dword s2, s[4:5], 0x20
	s_load_dwordx2 s[0:1], s[4:5], 0x10
	s_load_dwordx4 s[16:19], s[4:5], 0x0
	s_waitcnt lgkmcnt(0)
	s_bitcmp0_b32 s2, 0
	s_mov_b32 s2, 0
	v_pk_mov_b32 v[2:3], s[0:1], s[0:1] op_sel:[0,1]
	v_pk_mov_b32 v[12:13], s[18:19], s[18:19] op_sel:[0,1]
	s_cbranch_scc1 .LBB5_2
; %bb.1:
	v_pk_mov_b32 v[2:3], s[0:1], s[0:1] op_sel:[0,1]
	flat_load_dwordx2 v[2:3], v[2:3]
	v_pk_mov_b32 v[4:5], s[18:19], s[18:19] op_sel:[0,1]
	flat_load_dwordx2 v[12:13], v[4:5]
	s_load_dwordx2 s[0:1], s[4:5], 0x18
	s_waitcnt lgkmcnt(0)
	v_mov_b32_e32 v1, s1
	s_waitcnt vmcnt(0)
	v_add_co_u32_e32 v2, vcc, s0, v2
	v_addc_co_u32_e32 v3, vcc, v3, v1, vcc
.LBB5_2:
	s_load_dword s0, s[4:5], 0x154
	s_load_dword s7, s[4:5], 0x148
	s_waitcnt lgkmcnt(0)
	s_and_b32 s8, s0, 0xffff
	s_add_u32 s9, s16, -1
	s_mul_i32 s33, s7, s8
	s_addc_u32 s3, s17, -1
	s_lshl_b32 s58, s33, 2
	s_cmp_lg_u64 s[2:3], 0
	s_mov_b64 s[0:1], -1
	s_cbranch_scc0 .LBB5_59
; %bb.3:
	v_cvt_f32_u32_e32 v1, s58
	v_cvt_f32_ubyte0_e32 v4, 0
	s_sub_u32 s2, 0, s58
	s_subb_u32 s10, 0, 0
	v_madmk_f32 v1, v4, 0x4f800000, v1
	v_rcp_f32_e32 v1, v1
	v_mul_f32_e32 v1, 0x5f7ffffc, v1
	v_mul_f32_e32 v4, 0x2f800000, v1
	v_trunc_f32_e32 v4, v4
	v_madmk_f32 v1, v4, 0xcf800000, v1
	v_cvt_u32_f32_e32 v4, v4
	v_cvt_u32_f32_e32 v1, v1
	v_readfirstlane_b32 s11, v4
	v_readfirstlane_b32 s12, v1
	s_mul_i32 s13, s2, s11
	s_mul_hi_u32 s15, s2, s12
	s_mul_i32 s14, s10, s12
	s_add_i32 s13, s15, s13
	s_add_i32 s13, s13, s14
	s_mul_i32 s18, s2, s12
	s_mul_hi_u32 s14, s12, s13
	s_mul_i32 s15, s12, s13
	s_mul_hi_u32 s12, s12, s18
	s_add_u32 s12, s12, s15
	s_addc_u32 s14, 0, s14
	s_mul_hi_u32 s19, s11, s18
	s_mul_i32 s18, s11, s18
	s_add_u32 s12, s12, s18
	s_mul_hi_u32 s15, s11, s13
	s_addc_u32 s12, s14, s19
	s_addc_u32 s14, s15, 0
	s_mul_i32 s13, s11, s13
	s_add_u32 s12, s12, s13
	s_addc_u32 s13, 0, s14
	v_add_co_u32_e32 v1, vcc, s12, v1
	s_cmp_lg_u64 vcc, 0
	s_addc_u32 s11, s11, s13
	v_readfirstlane_b32 s13, v1
	s_mul_i32 s12, s2, s11
	s_mul_hi_u32 s14, s2, s13
	s_add_i32 s12, s14, s12
	s_mul_i32 s10, s10, s13
	s_add_i32 s12, s12, s10
	s_mul_i32 s2, s2, s13
	s_mul_hi_u32 s14, s11, s2
	s_mul_i32 s15, s11, s2
	s_mul_i32 s19, s13, s12
	s_mul_hi_u32 s2, s13, s2
	s_mul_hi_u32 s18, s13, s12
	s_add_u32 s2, s2, s19
	s_addc_u32 s13, 0, s18
	s_add_u32 s2, s2, s15
	s_mul_hi_u32 s10, s11, s12
	s_addc_u32 s2, s13, s14
	s_addc_u32 s10, s10, 0
	s_mul_i32 s12, s11, s12
	s_add_u32 s2, s2, s12
	s_addc_u32 s10, 0, s10
	v_add_co_u32_e32 v1, vcc, s2, v1
	s_cmp_lg_u64 vcc, 0
	s_addc_u32 s12, s11, s10
	s_ashr_i32 s10, s3, 31
	s_add_u32 s2, s9, s10
	s_mov_b32 s11, s10
	s_addc_u32 s3, s3, s10
	s_xor_b64 s[2:3], s[2:3], s[10:11]
	v_readfirstlane_b32 s15, v1
	s_mul_i32 s14, s2, s12
	s_mul_hi_u32 s18, s2, s15
	s_mul_hi_u32 s13, s2, s12
	s_add_u32 s14, s18, s14
	s_addc_u32 s13, 0, s13
	s_mul_hi_u32 s19, s3, s15
	s_mul_i32 s15, s3, s15
	s_add_u32 s14, s14, s15
	s_mul_hi_u32 s18, s3, s12
	s_addc_u32 s13, s13, s19
	s_addc_u32 s14, s18, 0
	s_mul_i32 s12, s3, s12
	s_add_u32 s12, s13, s12
	s_addc_u32 s13, 0, s14
	s_add_u32 s14, s12, 1
	s_addc_u32 s15, s13, 0
	s_add_u32 s18, s12, 2
	s_mul_i32 s20, s58, s13
	s_mul_hi_u32 s21, s58, s12
	s_addc_u32 s19, s13, 0
	s_add_i32 s21, s21, s20
	s_mul_i32 s20, s58, s12
	v_mov_b32_e32 v1, s20
	v_sub_co_u32_e32 v1, vcc, s2, v1
	s_cmp_lg_u64 vcc, 0
	s_subb_u32 s2, s3, s21
	v_subrev_co_u32_e32 v4, vcc, s58, v1
	s_cmp_lg_u64 vcc, 0
	s_subb_u32 s3, s2, 0
	v_readfirstlane_b32 s20, v4
	s_cmp_ge_u32 s20, s58
	s_cselect_b32 s20, -1, 0
	s_cmp_eq_u32 s3, 0
	s_cselect_b32 s3, s20, -1
	s_cmp_lg_u32 s3, 0
	s_cselect_b32 s3, s19, s15
	v_readfirstlane_b32 s15, v1
	s_cselect_b32 s14, s18, s14
	s_cmp_ge_u32 s15, s58
	s_cselect_b32 s15, -1, 0
	s_cmp_eq_u32 s2, 0
	s_cselect_b32 s2, s15, -1
	s_cmp_lg_u32 s2, 0
	s_cselect_b32 s3, s3, s13
	s_cselect_b32 s2, s14, s12
	s_xor_b64 s[2:3], s[2:3], s[10:11]
	s_sub_u32 s2, s2, s10
	s_subb_u32 s3, s3, s10
	s_cbranch_execnz .LBB5_5
.LBB5_4:
	v_cvt_f32_u32_e32 v1, s58
	s_sub_i32 s0, 0, s58
	s_mov_b32 s3, 0
	v_rcp_iflag_f32_e32 v1, v1
	v_mul_f32_e32 v1, 0x4f7ffffe, v1
	v_cvt_u32_f32_e32 v1, v1
	v_readfirstlane_b32 s1, v1
	s_mul_i32 s0, s0, s1
	s_mul_hi_u32 s0, s1, s0
	s_add_i32 s1, s1, s0
	s_mul_hi_u32 s0, s9, s1
	s_mul_i32 s2, s0, s58
	s_sub_i32 s2, s9, s2
	s_add_i32 s1, s0, 1
	s_sub_i32 s9, s2, s58
	s_cmp_ge_u32 s2, s58
	s_cselect_b32 s0, s1, s0
	s_cselect_b32 s2, s9, s2
	s_add_i32 s1, s0, 1
	s_cmp_ge_u32 s2, s58
	s_cselect_b32 s2, s1, s0
.LBB5_5:
	v_mov_b32_e32 v1, 0
	v_mov_b32_e32 v4, s6
	v_mad_u64_u32 v[14:15], s[0:1], s8, v4, v[0:1]
	s_add_u32 s0, s2, 1
	s_addc_u32 s1, s3, 0
	s_mul_hi_u32 s2, s7, s8
	s_mul_i32 s1, s33, s1
	s_mul_hi_u32 s3, s33, s0
	s_add_i32 s1, s3, s1
	s_mul_i32 s2, s2, s0
	s_add_i32 s1, s1, s2
	s_mul_i32 s0, s33, s0
	s_lshl_b64 s[18:19], s[0:1], 2
	v_cmp_gt_i64_e32 vcc, s[18:19], v[14:15]
	s_and_saveexec_b64 s[0:1], vcc
	s_cbranch_execz .LBB5_58
; %bb.6:
	s_mov_b32 s0, 0x5384540f
	v_mov_b32_e32 v0, v13
	v_add_co_u32_e32 v22, vcc, s0, v12
	s_mov_b32 s0, 0x646e171e
	v_add_co_u32_e32 v23, vcc, s0, v0
	s_mov_b32 s0, 0x1715609d
	;; [unrolled: 2-line block ×6, first 2 shown]
	v_alignbit_b32 v29, v3, v2, 2
	s_mov_b32 s60, 0xd2511f53
	v_add_co_u32_e32 v28, vcc, s0, v12
	v_mad_u64_u32 v[4:5], s[0:1], v29, s60, 0
	v_and_b32_e32 v18, 3, v2
	v_xor_b32_e32 v2, v5, v13
	v_xor_b32_e32 v2, v2, v15
	s_mov_b32 s61, 0xcd9e8d57
	v_mad_u64_u32 v[6:7], s[0:1], v2, s61, 0
	v_xor_b32_e32 v2, v28, v7
	v_mad_u64_u32 v[8:9], s[0:1], v14, s61, 0
	v_xor_b32_e32 v2, v2, v8
	;; [unrolled: 2-line block ×3, first 2 shown]
	v_lshrrev_b32_e32 v30, 2, v3
	v_xor_b32_e32 v2, v2, v30
	v_xor_b32_e32 v5, v27, v11
	v_mad_u64_u32 v[2:3], s[0:1], v2, s60, 0
	v_xor_b32_e32 v2, v5, v2
	v_mad_u64_u32 v[8:9], s[0:1], v2, s61, 0
	s_mov_b32 s0, 0xbb67ae85
	v_add_co_u32_e32 v31, vcc, s0, v0
	v_xor_b32_e32 v2, v31, v3
	v_xor_b32_e32 v2, v2, v4
	v_xor_b32_e32 v5, v26, v9
	v_mad_u64_u32 v[2:3], s[0:1], v2, s61, 0
	v_xor_b32_e32 v2, v5, v2
	v_mad_u64_u32 v[4:5], s[0:1], v2, s60, 0
	s_mov_b32 s0, 0x3c6ef372
	v_add_co_u32_e32 v32, vcc, s0, v12
	v_xor_b32_e32 v2, v32, v3
	;; [unrolled: 8-line block ×6, first 2 shown]
	v_add_co_u32_e32 v21, vcc, 0xdb3d7428, v0
	v_xor_b32_e32 v2, v2, v6
	v_xor_b32_e32 v5, v21, v5
	v_mad_u64_u32 v[2:3], s[0:1], v2, s60, 0
	v_xor_b32_e32 v2, v5, v2
	v_mad_u64_u32 v[16:17], s[0:1], v2, s61, 0
	s_mov_b32 s0, 0x1fd5c5a3
	v_add_co_u32_e32 v37, vcc, s0, v0
	v_xor_b32_e32 v0, v37, v3
	v_xor_b32_e32 v0, v0, v10
	v_mad_u64_u32 v[2:3], s[0:1], v0, s61, 0
	s_mov_b32 s0, 0xf1bbcdc8
	s_load_dwordx8 s[8:15], s[4:5], 0x30
	v_add_u32_e32 v19, 0x8ff34781, v12
	v_xor_b32_e32 v0, v17, v2
	v_add_co_u32_e32 v38, vcc, s0, v12
	v_xor_b32_e32 v6, v19, v0
	v_xor_b32_e32 v0, v38, v3
	;; [unrolled: 1-line block ×3, first 2 shown]
	s_add_u32 s34, s4, 48
	v_mad_u64_u32 v[2:3], s[0:1], v0, s60, 0
	s_addc_u32 s35, s5, 0
	s_waitcnt lgkmcnt(0)
	s_add_i32 s0, s8, -1
	s_cmp_lt_u32 s0, 2
	s_cselect_b64 s[36:37], -1, 0
	s_cmp_lg_u32 s8, 0
	s_cselect_b64 s[38:39], -1, 0
	s_add_u32 s40, s4, 0xf4
	s_addc_u32 s41, s5, 0
	s_min_u32 s1, s0, 15
	s_cmp_gt_u32 s8, 1
	s_cselect_b64 s[42:43], -1, 0
	s_add_i32 s1, s1, 1
	s_mov_b32 s8, s13
	s_load_dwordx2 s[44:45], s[4:5], 0xf4
	s_load_dwordx4 s[20:23], s[4:5], 0x138
	s_and_b32 s13, s1, 3
	s_cmp_lg_u32 s0, 2
	s_cselect_b64 s[46:47], -1, 0
	s_and_b32 s15, s1, 28
	v_add_u32_e32 v20, 0x96a522ad, v13
	v_xor_b32_e32 v0, v3, v4
	s_cmp_lg_u32 s13, 0
	s_mov_b32 s59, 0
	v_xor_b32_e32 v8, v20, v0
	v_mov_b32_e32 v7, v16
	v_mov_b32_e32 v9, v2
	s_mov_b64 s[48:49], 0
	s_cselect_b64 s[50:51], -1, 0
	s_mov_b32 s62, 0x3f7ffffe
	s_brev_b32 s63, 44
	s_brev_b32 s64, 18
	s_mov_b32 s65, 0xfe5163ab
	s_mov_b32 s66, 0x3c439041
	;; [unrolled: 1-line block ×10, first 2 shown]
	v_mov_b32_e32 v39, 0x3f93f425
	s_movk_i32 s75, 0x1f8
	v_mov_b32_e32 v40, 0x3f7ffffe
	v_bfrev_b32_e32 v41, 44
	v_not_b32_e32 v42, 63
	v_not_b32_e32 v43, 31
	v_mov_b32_e32 v44, 0x7fc00000
	v_mov_b32_e32 v45, v14
	;; [unrolled: 1-line block ×3, first 2 shown]
	s_branch .LBB5_9
.LBB5_7:                                ;   in Loop: Header=BB5_9 Depth=1
	s_or_b64 exec, exec, s[0:1]
	v_mul_f32_e32 v9, v0, v0
	v_mov_b32_e32 v10, 0xbf039337
	v_fmac_f32_e32 v10, 0x3c971480, v9
	v_fma_f32 v10, v9, v10, v39
	v_rcp_f32_e32 v10, v10
	v_mov_b32_e32 v11, 0x3ec54587
	v_fmac_f32_e32 v11, 0xbc8cedd3, v9
	v_and_b32_e32 v8, 1, v8
	v_mul_f32_e32 v10, v11, v10
	v_mul_f32_e32 v9, v9, v10
	v_fma_f32 v10, v9, v0, v0
	v_rcp_f32_e32 v11, v10
	v_sub_f32_e32 v17, v10, v0
	v_fma_f32 v0, v9, v0, -v17
	v_cmp_eq_u32_e32 vcc, 0, v8
	v_fma_f32 v9, v10, -v11, 1.0
	v_fma_f32 v0, v0, -v11, v9
	v_fma_f32 v0, v0, -v11, -v11
	v_cndmask_b32_e32 v0, v0, v10, vcc
	v_xor_b32_e32 v7, v7, v5
	v_xor_b32_e32 v0, v7, v0
	v_cmp_class_f32_e64 vcc, v5, s75
	v_cndmask_b32_e32 v0, v44, v0, vcc
	s_waitcnt lgkmcnt(0)
	v_mov_b32_e32 v5, s22
	v_fma_f32 v0, s23, v0, v5
	global_store_dword v6, v0, s[20:21]
.LBB5_8:                                ;   in Loop: Header=BB5_9 Depth=1
	s_or_b64 exec, exec, s[52:53]
	v_add_co_u32_e32 v14, vcc, s58, v14
	v_mov_b32_e32 v5, v16
	v_addc_co_u32_e32 v15, vcc, 0, v15, vcc
	v_cmp_le_i64_e32 vcc, s[18:19], v[14:15]
	v_pk_mov_b32 v[8:9], v[4:5], v[4:5] op_sel:[0,1]
	s_or_b64 s[48:49], vcc, s[48:49]
	v_pk_mov_b32 v[6:7], v[2:3], v[2:3] op_sel:[0,1]
	s_waitcnt lgkmcnt(0)
	s_barrier
	s_andn2_b64 exec, exec, s[48:49]
	s_cbranch_execz .LBB5_58
.LBB5_9:                                ; =>This Loop Header: Depth=1
                                        ;     Child Loop BB5_28 Depth 2
                                        ;     Child Loop BB5_33 Depth 2
	;; [unrolled: 1-line block ×4, first 2 shown]
	v_add_co_u32_e32 v29, vcc, 1, v29
	v_cndmask_b32_e64 v0, 0, 1, vcc
	v_addc_co_u32_e32 v30, vcc, 0, v30, vcc
	v_cmp_eq_u32_e32 vcc, 0, v30
	v_cndmask_b32_e32 v0, 0, v0, vcc
	v_add_u32_e32 v45, v0, v45
	v_cmp_eq_u32_e32 vcc, 0, v45
	v_cndmask_b32_e32 v0, 0, v0, vcc
	v_mad_u64_u32 v[2:3], s[0:1], v29, s60, 0
	v_mad_u64_u32 v[4:5], s[0:1], v45, s61, 0
	v_add_u32_e32 v46, v0, v46
	v_xor_b32_e32 v0, v5, v12
	v_xor_b32_e32 v3, v3, v13
	v_xor_b32_e32 v0, v30, v0
	v_xor_b32_e32 v3, v46, v3
	v_mad_u64_u32 v[10:11], s[0:1], v0, s60, 0
	v_mad_u64_u32 v[16:17], s[0:1], v3, s61, 0
	v_xor_b32_e32 v0, v28, v17
	v_xor_b32_e32 v3, v31, v11
	v_xor_b32_e32 v0, v0, v4
	v_xor_b32_e32 v4, v3, v2
	v_mad_u64_u32 v[2:3], s[0:1], v0, s60, 0
	v_mad_u64_u32 v[4:5], s[0:1], v4, s61, 0
	;; [unrolled: 6-line block ×9, first 2 shown]
	v_xor_b32_e32 v0, v11, v2
	v_xor_b32_e32 v2, v19, v0
	;; [unrolled: 1-line block ×4, first 2 shown]
	v_mov_b32_e32 v3, v10
	v_mov_b32_e32 v4, v11
	v_cmp_lt_i32_e32 vcc, 1, v18
	s_and_saveexec_b64 s[0:1], vcc
	s_xor_b64 s[0:1], exec, s[0:1]
	s_cbranch_execnz .LBB5_12
; %bb.10:                               ;   in Loop: Header=BB5_9 Depth=1
	s_andn2_saveexec_b64 s[0:1], s[0:1]
	s_cbranch_execnz .LBB5_17
.LBB5_11:                               ;   in Loop: Header=BB5_9 Depth=1
	s_or_b64 exec, exec, s[0:1]
	v_cmp_gt_i64_e32 vcc, s[16:17], v[14:15]
	s_and_saveexec_b64 s[52:53], vcc
	s_cbranch_execnz .LBB5_20
	s_branch .LBB5_39
.LBB5_12:                               ;   in Loop: Header=BB5_9 Depth=1
	v_cmp_lt_i32_e32 vcc, 2, v18
	s_and_saveexec_b64 s[2:3], vcc
	s_xor_b64 s[2:3], exec, s[2:3]
; %bb.13:                               ;   in Loop: Header=BB5_9 Depth=1
	v_mov_b32_e32 v8, v9
	v_mov_b32_e32 v9, v2
	v_pk_mov_b32 v[6:7], v[8:9], v[8:9] op_sel:[0,1]
	v_pk_mov_b32 v[8:9], v[10:11], v[10:11] op_sel:[0,1]
                                        ; implicit-def: $vgpr10_vgpr11
; %bb.14:                               ;   in Loop: Header=BB5_9 Depth=1
	s_andn2_saveexec_b64 s[2:3], s[2:3]
; %bb.15:                               ;   in Loop: Header=BB5_9 Depth=1
	v_mov_b32_e32 v6, v8
	v_mov_b32_e32 v7, v9
	;; [unrolled: 1-line block ×4, first 2 shown]
; %bb.16:                               ;   in Loop: Header=BB5_9 Depth=1
	s_or_b64 exec, exec, s[2:3]
	s_andn2_saveexec_b64 s[0:1], s[0:1]
	s_cbranch_execz .LBB5_11
.LBB5_17:                               ;   in Loop: Header=BB5_9 Depth=1
	v_cmp_eq_u32_e32 vcc, 1, v18
	s_and_saveexec_b64 s[2:3], vcc
; %bb.18:                               ;   in Loop: Header=BB5_9 Depth=1
	v_mov_b32_e32 v6, v7
	v_mov_b32_e32 v7, v8
	;; [unrolled: 1-line block ×4, first 2 shown]
; %bb.19:                               ;   in Loop: Header=BB5_9 Depth=1
	s_or_b64 exec, exec, s[2:3]
	s_or_b64 exec, exec, s[0:1]
	v_cmp_gt_i64_e32 vcc, s[16:17], v[14:15]
	s_and_saveexec_b64 s[52:53], vcc
	s_cbranch_execz .LBB5_39
.LBB5_20:                               ;   in Loop: Header=BB5_9 Depth=1
	s_and_b64 vcc, exec, s[36:37]
	s_cbranch_vccz .LBB5_24
; %bb.21:                               ;   in Loop: Header=BB5_9 Depth=1
	v_mul_hi_u32 v0, v14, s10
	v_add_u32_e32 v0, v0, v14
	v_lshrrev_b32_e32 v0, s11, v0
	v_mul_lo_u32 v5, v0, s9
	v_sub_u32_e32 v5, v14, v5
	s_andn2_b64 vcc, exec, s[42:43]
	s_waitcnt lgkmcnt(0)
	v_mul_lo_u32 v10, v5, s44
	s_cbranch_vccnz .LBB5_23
; %bb.22:                               ;   in Loop: Header=BB5_9 Depth=1
	v_mul_hi_u32 v5, s8, v0
	v_add_u32_e32 v5, v0, v5
	v_lshrrev_b32_e32 v5, s14, v5
	v_mul_lo_u32 v5, v5, s12
	v_sub_u32_e32 v0, v0, v5
	v_mad_u64_u32 v[10:11], s[0:1], v0, s45, v[10:11]
.LBB5_23:                               ;   in Loop: Header=BB5_9 Depth=1
	s_cbranch_execz .LBB5_25
	s_branch .LBB5_34
.LBB5_24:                               ;   in Loop: Header=BB5_9 Depth=1
                                        ; implicit-def: $vgpr10
.LBB5_25:                               ;   in Loop: Header=BB5_9 Depth=1
	s_andn2_b64 vcc, exec, s[38:39]
	s_cbranch_vccnz .LBB5_30
; %bb.26:                               ;   in Loop: Header=BB5_9 Depth=1
	s_mov_b32 s2, 0
	s_andn2_b64 vcc, exec, s[46:47]
	v_mov_b32_e32 v10, 0
	s_cbranch_vccnz .LBB5_31
; %bb.27:                               ;   in Loop: Header=BB5_9 Depth=1
	s_mov_b32 s76, 0
	v_mov_b32_e32 v10, 0
	s_mov_b64 s[54:55], s[34:35]
	s_mov_b64 s[56:57], s[40:41]
	v_mov_b32_e32 v0, v14
.LBB5_28:                               ;   Parent Loop BB5_9 Depth=1
                                        ; =>  This Inner Loop Header: Depth=2
	s_load_dwordx8 s[0:7], s[54:55], 0x4
	s_load_dwordx4 s[24:27], s[54:55], 0x24
	s_load_dwordx4 s[28:31], s[56:57], 0x0
	s_add_u32 s54, s54, 48
	s_addc_u32 s55, s55, 0
	s_waitcnt lgkmcnt(0)
	v_mul_hi_u32 v5, s1, v0
	v_add_u32_e32 v5, v0, v5
	v_lshrrev_b32_e32 v5, s2, v5
	v_mul_lo_u32 v11, v5, s0
	v_mul_hi_u32 v17, s4, v5
	v_sub_u32_e32 v0, v0, v11
	v_add_u32_e32 v11, v5, v17
	v_lshrrev_b32_e32 v11, s5, v11
	v_mul_lo_u32 v17, v11, s3
	v_mul_hi_u32 v47, s7, v11
	v_sub_u32_e32 v5, v5, v17
	v_add_u32_e32 v17, v11, v47
	v_mul_lo_u32 v0, v0, s28
	v_mul_lo_u32 v5, v5, s29
	v_lshrrev_b32_e32 v17, s24, v17
	v_add3_u32 v5, v0, v10, v5
	v_mul_lo_u32 v0, v17, s6
	v_mul_hi_u32 v10, s26, v17
	v_sub_u32_e32 v0, v11, v0
	v_add_u32_e32 v10, v17, v10
	v_mul_lo_u32 v11, v0, s30
	v_lshrrev_b32_e32 v0, s27, v10
	s_add_i32 s76, s76, 4
	v_mul_lo_u32 v10, v0, s25
	s_add_u32 s56, s56, 16
	v_sub_u32_e32 v10, v17, v10
	s_addc_u32 s57, s57, 0
	v_mul_lo_u32 v10, v10, s31
	s_cmp_lg_u32 s15, s76
	v_add3_u32 v10, v11, v5, v10
	s_cbranch_scc1 .LBB5_28
; %bb.29:                               ;   in Loop: Header=BB5_9 Depth=1
	s_mov_b32 s2, s15
	s_andn2_b64 vcc, exec, s[50:51]
	s_cbranch_vccz .LBB5_32
	s_branch .LBB5_34
.LBB5_30:                               ;   in Loop: Header=BB5_9 Depth=1
	v_mov_b32_e32 v10, 0
	s_branch .LBB5_34
.LBB5_31:                               ;   in Loop: Header=BB5_9 Depth=1
	v_mov_b32_e32 v0, v14
	s_andn2_b64 vcc, exec, s[50:51]
	s_cbranch_vccnz .LBB5_34
.LBB5_32:                               ;   in Loop: Header=BB5_9 Depth=1
	s_lshl_b32 s0, s2, 2
	s_add_u32 s0, s40, s0
	s_addc_u32 s1, s41, 0
	s_mul_i32 s2, s2, 12
	s_add_u32 s2, s34, s2
	s_addc_u32 s3, s35, 0
	s_mov_b32 s4, s13
.LBB5_33:                               ;   Parent Loop BB5_9 Depth=1
                                        ; =>  This Inner Loop Header: Depth=2
	s_load_dwordx2 s[6:7], s[2:3], 0x4
	s_load_dword s5, s[2:3], 0xc
	s_load_dword s24, s[0:1], 0x0
	s_add_u32 s2, s2, 12
	s_addc_u32 s3, s3, 0
	s_waitcnt lgkmcnt(0)
	v_mul_hi_u32 v5, s7, v0
	v_add_u32_e32 v5, v0, v5
	v_lshrrev_b32_e32 v5, s5, v5
	s_add_u32 s0, s0, 4
	v_mul_lo_u32 v11, v5, s6
	s_addc_u32 s1, s1, 0
	s_add_i32 s4, s4, -1
	v_sub_u32_e32 v11, v0, v11
	s_cmp_eq_u32 s4, 0
	v_mov_b32_e32 v0, v5
	v_mad_u64_u32 v[10:11], s[6:7], v11, s24, v[10:11]
	s_cbranch_scc0 .LBB5_33
.LBB5_34:                               ;   in Loop: Header=BB5_9 Depth=1
	v_lshrrev_b32_e32 v0, 11, v7
	v_cvt_f64_u32_e32 v[48:49], v0
	v_ldexp_f64 v[48:49], v[48:49], 32
	v_cvt_f64_u32_e32 v[6:7], v6
	v_add_f64 v[6:7], v[48:49], v[6:7]
	v_mov_b32_e32 v48, 0
	v_mov_b32_e32 v49, 0x3ca00000
	v_fmac_f64_e32 v[48:49], 0x3ca00000, v[6:7]
	v_cvt_f32_f64_e32 v0, v[48:49]
	v_cmp_nlt_f32_e32 vcc, s62, v0
	v_cndmask_b32_e32 v0, v40, v0, vcc
	v_cmp_ngt_f32_e32 vcc, s63, v0
	v_cndmask_b32_e32 v0, v41, v0, vcc
	v_add_f32_e32 v0, -0.5, v0
	v_mul_f32_e32 v5, 0x40490fdb, v0
	v_and_b32_e32 v6, 0x7fffffff, v5
	v_cmp_nlt_f32_e64 s[0:1], |v5|, s64
                                        ; implicit-def: $vgpr7
                                        ; implicit-def: $vgpr0
	s_and_saveexec_b64 s[2:3], s[0:1]
	s_xor_b64 s[6:7], exec, s[2:3]
	s_cbranch_execz .LBB5_36
; %bb.35:                               ;   in Loop: Header=BB5_9 Depth=1
	v_lshrrev_b32_e32 v0, 23, v6
	v_add_u32_e32 v0, 0xffffff88, v0
	v_cmp_lt_u32_e32 vcc, 63, v0
	v_cndmask_b32_e32 v7, 0, v42, vcc
	v_add_u32_e32 v0, v7, v0
	v_cmp_lt_u32_e64 s[0:1], 31, v0
	v_cndmask_b32_e64 v7, 0, v43, s[0:1]
	v_add_u32_e32 v0, v7, v0
	v_cmp_lt_u32_e64 s[2:3], 31, v0
	v_cndmask_b32_e64 v7, 0, v43, s[2:3]
	v_add_u32_e32 v7, v7, v0
	v_and_b32_e32 v0, 0x7fffff, v6
	v_or_b32_e32 v11, 0x800000, v0
	v_mad_u64_u32 v[48:49], s[4:5], v11, s65, 0
	v_mov_b32_e32 v0, v49
	v_mad_u64_u32 v[50:51], s[4:5], v11, s66, v[0:1]
	v_mov_b32_e32 v0, v51
	;; [unrolled: 2-line block ×6, first 2 shown]
	v_mad_u64_u32 v[60:61], s[4:5], v11, s71, v[0:1]
	v_cndmask_b32_e32 v17, v58, v54, vcc
	v_cndmask_b32_e32 v0, v60, v56, vcc
	;; [unrolled: 1-line block ×3, first 2 shown]
	v_cndmask_b32_e64 v11, v0, v17, s[0:1]
	v_cndmask_b32_e64 v0, v47, v0, s[0:1]
	v_cndmask_b32_e32 v47, v56, v52, vcc
	v_cndmask_b32_e64 v17, v17, v47, s[0:1]
	v_cndmask_b32_e64 v0, v0, v11, s[2:3]
	;; [unrolled: 1-line block ×3, first 2 shown]
	v_sub_u32_e32 v49, 32, v7
	v_alignbit_b32 v51, v0, v11, v49
	v_cmp_eq_u32_e64 s[4:5], 0, v7
	v_cndmask_b32_e64 v7, v51, v0, s[4:5]
	v_cndmask_b32_e32 v0, v54, v50, vcc
	v_cndmask_b32_e64 v47, v47, v0, s[0:1]
	v_cndmask_b32_e64 v17, v17, v47, s[2:3]
	v_alignbit_b32 v50, v11, v17, v49
	v_cndmask_b32_e32 v48, v52, v48, vcc
	v_cndmask_b32_e64 v11, v50, v11, s[4:5]
	v_bfe_u32 v53, v7, 29, 1
	v_cndmask_b32_e64 v0, v0, v48, s[0:1]
	v_alignbit_b32 v50, v7, v11, 30
	v_sub_u32_e32 v54, 0, v53
	v_cndmask_b32_e64 v0, v47, v0, s[2:3]
	v_xor_b32_e32 v55, v50, v54
	v_alignbit_b32 v47, v17, v0, v49
	v_cndmask_b32_e64 v17, v47, v17, s[4:5]
	v_ffbh_u32_e32 v47, v55
	v_add_u32_e32 v47, 1, v47
	v_cmp_ne_u32_e32 vcc, v50, v54
	v_alignbit_b32 v11, v11, v17, 30
	v_cndmask_b32_e32 v47, 33, v47, vcc
	v_alignbit_b32 v0, v17, v0, 30
	v_xor_b32_e32 v11, v11, v54
	v_sub_u32_e32 v48, 32, v47
	v_xor_b32_e32 v0, v0, v54
	v_alignbit_b32 v49, v55, v11, v48
	v_alignbit_b32 v0, v11, v0, v48
	;; [unrolled: 1-line block ×3, first 2 shown]
	v_ffbh_u32_e32 v17, v11
	v_min_u32_e32 v17, 32, v17
	v_lshrrev_b32_e32 v51, 29, v7
	v_sub_u32_e32 v48, 31, v17
	v_alignbit_b32 v0, v11, v0, v48
	v_lshlrev_b32_e32 v11, 31, v51
	v_or_b32_e32 v48, 0x33800000, v11
	v_add_lshl_u32 v17, v17, v47, 23
	v_lshrrev_b32_e32 v0, 9, v0
	v_sub_u32_e32 v17, v48, v17
	v_or_b32_e32 v0, v17, v0
	v_alignbit_b32 v17, v47, v49, 9
	v_or_b32_e32 v11, v17, v11
	v_xor_b32_e32 v11, 1.0, v11
	v_mul_f32_e32 v17, 0x3fc90fda, v11
	v_fma_f32 v47, v11, s72, -v17
	v_fmac_f32_e32 v47, 0x33a22168, v11
	v_fmac_f32_e32 v47, 0x3fc90fda, v0
	v_lshrrev_b32_e32 v7, 30, v7
	v_add_f32_e32 v0, v17, v47
	v_add_u32_e32 v7, v53, v7
.LBB5_36:                               ;   in Loop: Header=BB5_9 Depth=1
	s_andn2_saveexec_b64 s[0:1], s[6:7]
; %bb.37:                               ;   in Loop: Header=BB5_9 Depth=1
	v_mul_f32_e64 v0, |v5|, s73
	v_rndne_f32_e32 v11, v0
	v_cvt_i32_f32_e32 v7, v11
	v_fma_f32 v0, v11, s74, |v5|
	v_fmac_f32_e32 v0, 0xb3a22168, v11
	v_fmac_f32_e32 v0, 0xa7c234c4, v11
; %bb.38:                               ;   in Loop: Header=BB5_9 Depth=1
	s_or_b64 exec, exec, s[0:1]
	v_mul_f32_e32 v11, v0, v0
	v_mov_b32_e32 v17, 0xbf039337
	v_fmac_f32_e32 v17, 0x3c971480, v11
	v_fma_f32 v17, v11, v17, v39
	v_rcp_f32_e32 v17, v17
	v_mov_b32_e32 v47, 0x3ec54587
	v_fmac_f32_e32 v47, 0xbc8cedd3, v11
	v_and_b32_e32 v7, 1, v7
	v_mul_f32_e32 v17, v47, v17
	v_mul_f32_e32 v11, v11, v17
	v_fma_f32 v17, v11, v0, v0
	v_rcp_f32_e32 v47, v17
	v_sub_f32_e32 v48, v17, v0
	v_fma_f32 v0, v11, v0, -v48
	v_cmp_eq_u32_e32 vcc, 0, v7
	v_fma_f32 v11, v17, -v47, 1.0
	v_fma_f32 v0, v0, -v47, v11
	v_fma_f32 v0, v0, -v47, -v47
	v_cndmask_b32_e32 v0, v0, v17, vcc
	v_xor_b32_e32 v6, v6, v5
	v_xor_b32_e32 v0, v6, v0
	v_cmp_class_f32_e64 vcc, v5, s75
	v_cndmask_b32_e32 v0, v44, v0, vcc
	s_waitcnt lgkmcnt(0)
	v_mov_b32_e32 v5, s22
	v_fma_f32 v0, s23, v0, v5
	global_store_dword v10, v0, s[20:21]
.LBB5_39:                               ;   in Loop: Header=BB5_9 Depth=1
	s_or_b64 exec, exec, s[52:53]
	v_mov_b32_e32 v0, s59
	v_add_co_u32_e32 v10, vcc, s33, v14
	v_addc_co_u32_e32 v11, vcc, v15, v0, vcc
	v_cmp_gt_i64_e32 vcc, s[16:17], v[10:11]
	s_and_saveexec_b64 s[52:53], vcc
	s_cbranch_execz .LBB5_8
; %bb.40:                               ;   in Loop: Header=BB5_9 Depth=1
	s_and_b64 vcc, exec, s[36:37]
	s_cbranch_vccz .LBB5_44
; %bb.41:                               ;   in Loop: Header=BB5_9 Depth=1
	v_mul_hi_u32 v0, v10, s10
	v_add_u32_e32 v0, v0, v10
	v_lshrrev_b32_e32 v0, s11, v0
	v_mul_lo_u32 v5, v0, s9
	v_sub_u32_e32 v5, v10, v5
	s_andn2_b64 vcc, exec, s[42:43]
	s_waitcnt lgkmcnt(0)
	v_mul_lo_u32 v6, v5, s44
	s_cbranch_vccnz .LBB5_43
; %bb.42:                               ;   in Loop: Header=BB5_9 Depth=1
	v_mul_hi_u32 v5, s8, v0
	v_add_u32_e32 v5, v0, v5
	v_lshrrev_b32_e32 v5, s14, v5
	v_mul_lo_u32 v5, v5, s12
	v_sub_u32_e32 v0, v0, v5
	v_mad_u64_u32 v[6:7], s[0:1], v0, s45, v[6:7]
.LBB5_43:                               ;   in Loop: Header=BB5_9 Depth=1
	s_cbranch_execz .LBB5_45
	s_branch .LBB5_54
.LBB5_44:                               ;   in Loop: Header=BB5_9 Depth=1
                                        ; implicit-def: $vgpr6
.LBB5_45:                               ;   in Loop: Header=BB5_9 Depth=1
	s_andn2_b64 vcc, exec, s[38:39]
	s_cbranch_vccnz .LBB5_53
; %bb.46:                               ;   in Loop: Header=BB5_9 Depth=1
	s_mov_b32 s2, 0
	s_andn2_b64 vcc, exec, s[46:47]
	v_mov_b32_e32 v6, 0
	s_cbranch_vccnz .LBB5_50
; %bb.47:                               ;   in Loop: Header=BB5_9 Depth=1
	s_mov_b32 s76, 0
	v_mov_b32_e32 v6, 0
	s_mov_b64 s[54:55], s[34:35]
	s_mov_b64 s[56:57], s[40:41]
.LBB5_48:                               ;   Parent Loop BB5_9 Depth=1
                                        ; =>  This Inner Loop Header: Depth=2
	s_load_dwordx8 s[0:7], s[54:55], 0x4
	s_load_dwordx4 s[24:27], s[54:55], 0x24
	s_load_dwordx4 s[28:31], s[56:57], 0x0
	s_add_u32 s54, s54, 48
	s_addc_u32 s55, s55, 0
	s_waitcnt lgkmcnt(0)
	v_mul_hi_u32 v0, s1, v10
	v_add_u32_e32 v0, v10, v0
	v_lshrrev_b32_e32 v0, s2, v0
	v_mul_hi_u32 v7, s4, v0
	v_add_u32_e32 v7, v0, v7
	v_mul_lo_u32 v5, v0, s0
	v_lshrrev_b32_e32 v7, s5, v7
	v_sub_u32_e32 v5, v10, v5
	v_mul_lo_u32 v10, v7, s3
	v_mul_hi_u32 v11, s7, v7
	v_sub_u32_e32 v0, v0, v10
	v_add_u32_e32 v10, v7, v11
	v_mul_lo_u32 v5, v5, s28
	v_mul_lo_u32 v0, v0, s29
	v_lshrrev_b32_e32 v11, s24, v10
	v_add3_u32 v0, v5, v6, v0
	v_mul_hi_u32 v6, s26, v11
	v_add_u32_e32 v6, v11, v6
	v_lshrrev_b32_e32 v10, s27, v6
	s_add_i32 s76, s76, 4
	v_mul_lo_u32 v5, v11, s6
	v_mul_lo_u32 v6, v10, s25
	s_add_u32 s56, s56, 16
	v_sub_u32_e32 v5, v7, v5
	v_sub_u32_e32 v6, v11, v6
	s_addc_u32 s57, s57, 0
	v_mul_lo_u32 v5, v5, s30
	v_mul_lo_u32 v6, v6, s31
	s_cmp_eq_u32 s15, s76
	v_add3_u32 v6, v5, v0, v6
	s_cbranch_scc0 .LBB5_48
; %bb.49:                               ;   in Loop: Header=BB5_9 Depth=1
	s_mov_b32 s2, s15
.LBB5_50:                               ;   in Loop: Header=BB5_9 Depth=1
	s_andn2_b64 vcc, exec, s[50:51]
	s_cbranch_vccnz .LBB5_54
; %bb.51:                               ;   in Loop: Header=BB5_9 Depth=1
	s_lshl_b32 s0, s2, 2
	s_add_u32 s0, s40, s0
	s_addc_u32 s1, s41, 0
	s_mul_i32 s2, s2, 12
	s_add_u32 s2, s34, s2
	s_addc_u32 s3, s35, 0
	s_mov_b32 s4, s13
.LBB5_52:                               ;   Parent Loop BB5_9 Depth=1
                                        ; =>  This Inner Loop Header: Depth=2
	s_load_dwordx2 s[6:7], s[2:3], 0x4
	s_load_dword s5, s[2:3], 0xc
	s_load_dword s24, s[0:1], 0x0
	s_add_u32 s2, s2, 12
	s_addc_u32 s3, s3, 0
	s_waitcnt lgkmcnt(0)
	v_mul_hi_u32 v0, s7, v10
	v_add_u32_e32 v0, v10, v0
	v_lshrrev_b32_e32 v0, s5, v0
	s_add_u32 s0, s0, 4
	v_mul_lo_u32 v5, v0, s6
	s_addc_u32 s1, s1, 0
	s_add_i32 s4, s4, -1
	v_sub_u32_e32 v5, v10, v5
	s_cmp_eq_u32 s4, 0
	v_mov_b32_e32 v10, v0
	v_mad_u64_u32 v[6:7], s[6:7], v5, s24, v[6:7]
	s_cbranch_scc0 .LBB5_52
	s_branch .LBB5_54
.LBB5_53:                               ;   in Loop: Header=BB5_9 Depth=1
	v_mov_b32_e32 v6, 0
.LBB5_54:                               ;   in Loop: Header=BB5_9 Depth=1
	v_lshrrev_b32_e32 v0, 11, v9
	v_cvt_f64_u32_e32 v[10:11], v0
	v_ldexp_f64 v[10:11], v[10:11], 32
	v_cvt_f64_u32_e32 v[8:9], v8
	v_add_f64 v[8:9], v[10:11], v[8:9]
	v_mov_b32_e32 v10, 0
	v_mov_b32_e32 v11, 0x3ca00000
	v_fmac_f64_e32 v[10:11], 0x3ca00000, v[8:9]
	v_cvt_f32_f64_e32 v0, v[10:11]
	v_cmp_nlt_f32_e32 vcc, s62, v0
	v_cndmask_b32_e32 v0, v40, v0, vcc
	v_cmp_ngt_f32_e32 vcc, s63, v0
	v_cndmask_b32_e32 v0, v41, v0, vcc
	v_add_f32_e32 v0, -0.5, v0
	v_mul_f32_e32 v5, 0x40490fdb, v0
	v_and_b32_e32 v7, 0x7fffffff, v5
	v_cmp_nlt_f32_e64 s[0:1], |v5|, s64
                                        ; implicit-def: $vgpr8
                                        ; implicit-def: $vgpr0
	s_and_saveexec_b64 s[2:3], s[0:1]
	s_xor_b64 s[6:7], exec, s[2:3]
	s_cbranch_execz .LBB5_56
; %bb.55:                               ;   in Loop: Header=BB5_9 Depth=1
	v_lshrrev_b32_e32 v0, 23, v7
	v_add_u32_e32 v0, 0xffffff88, v0
	v_cmp_lt_u32_e32 vcc, 63, v0
	v_cndmask_b32_e32 v8, 0, v42, vcc
	v_add_u32_e32 v0, v8, v0
	v_cmp_lt_u32_e64 s[0:1], 31, v0
	v_cndmask_b32_e64 v8, 0, v43, s[0:1]
	v_add_u32_e32 v0, v8, v0
	v_cmp_lt_u32_e64 s[2:3], 31, v0
	v_cndmask_b32_e64 v8, 0, v43, s[2:3]
	v_add_u32_e32 v17, v8, v0
	v_and_b32_e32 v0, 0x7fffff, v7
	v_or_b32_e32 v47, 0x800000, v0
	v_mad_u64_u32 v[8:9], s[4:5], v47, s65, 0
	v_mov_b32_e32 v0, v9
	v_mad_u64_u32 v[10:11], s[4:5], v47, s66, v[0:1]
	v_mov_b32_e32 v0, v11
	;; [unrolled: 2-line block ×6, first 2 shown]
	v_mad_u64_u32 v[56:57], s[4:5], v47, s71, v[0:1]
	v_cndmask_b32_e32 v9, v54, v50, vcc
	v_cndmask_b32_e32 v0, v56, v52, vcc
	;; [unrolled: 1-line block ×3, first 2 shown]
	v_cndmask_b32_e64 v11, v0, v9, s[0:1]
	v_cndmask_b32_e64 v0, v47, v0, s[0:1]
	v_cndmask_b32_e32 v47, v52, v48, vcc
	v_cndmask_b32_e64 v9, v9, v47, s[0:1]
	v_cndmask_b32_e64 v0, v0, v11, s[2:3]
	;; [unrolled: 1-line block ×3, first 2 shown]
	v_sub_u32_e32 v49, 32, v17
	v_alignbit_b32 v51, v0, v11, v49
	v_cmp_eq_u32_e64 s[4:5], 0, v17
	v_cndmask_b32_e64 v17, v51, v0, s[4:5]
	v_cndmask_b32_e32 v0, v50, v10, vcc
	v_cndmask_b32_e64 v10, v47, v0, s[0:1]
	v_cndmask_b32_e64 v9, v9, v10, s[2:3]
	v_alignbit_b32 v47, v11, v9, v49
	v_cndmask_b32_e64 v11, v47, v11, s[4:5]
	v_bfe_u32 v51, v17, 29, 1
	v_cndmask_b32_e32 v8, v48, v8, vcc
	v_alignbit_b32 v47, v17, v11, 30
	v_sub_u32_e32 v52, 0, v51
	v_cndmask_b32_e64 v0, v0, v8, s[0:1]
	v_xor_b32_e32 v53, v47, v52
	v_cndmask_b32_e64 v0, v10, v0, s[2:3]
	v_alignbit_b32 v8, v9, v0, v49
	v_ffbh_u32_e32 v10, v53
	v_cndmask_b32_e64 v8, v8, v9, s[4:5]
	v_add_u32_e32 v10, 1, v10
	v_cmp_ne_u32_e32 vcc, v47, v52
	v_alignbit_b32 v9, v11, v8, 30
	v_cndmask_b32_e32 v10, 33, v10, vcc
	v_alignbit_b32 v0, v8, v0, 30
	v_xor_b32_e32 v9, v9, v52
	v_sub_u32_e32 v11, 32, v10
	v_xor_b32_e32 v0, v0, v52
	v_alignbit_b32 v47, v53, v9, v11
	v_alignbit_b32 v0, v9, v0, v11
	;; [unrolled: 1-line block ×3, first 2 shown]
	v_ffbh_u32_e32 v9, v8
	v_min_u32_e32 v9, 32, v9
	v_lshrrev_b32_e32 v50, 29, v17
	v_sub_u32_e32 v11, 31, v9
	v_alignbit_b32 v0, v8, v0, v11
	v_lshlrev_b32_e32 v8, 31, v50
	v_or_b32_e32 v11, 0x33800000, v8
	v_add_lshl_u32 v9, v9, v10, 23
	v_lshrrev_b32_e32 v0, 9, v0
	v_sub_u32_e32 v9, v11, v9
	v_or_b32_e32 v0, v9, v0
	v_alignbit_b32 v9, v10, v47, 9
	v_or_b32_e32 v8, v9, v8
	v_xor_b32_e32 v8, 1.0, v8
	v_mul_f32_e32 v9, 0x3fc90fda, v8
	v_fma_f32 v10, v8, s72, -v9
	v_fmac_f32_e32 v10, 0x33a22168, v8
	v_fmac_f32_e32 v10, 0x3fc90fda, v0
	v_lshrrev_b32_e32 v8, 30, v17
	v_add_f32_e32 v0, v9, v10
	v_add_u32_e32 v8, v51, v8
.LBB5_56:                               ;   in Loop: Header=BB5_9 Depth=1
	s_andn2_saveexec_b64 s[0:1], s[6:7]
	s_cbranch_execz .LBB5_7
; %bb.57:                               ;   in Loop: Header=BB5_9 Depth=1
	v_mul_f32_e64 v0, |v5|, s73
	v_rndne_f32_e32 v9, v0
	v_cvt_i32_f32_e32 v8, v9
	v_fma_f32 v0, v9, s74, |v5|
	v_fmac_f32_e32 v0, 0xb3a22168, v9
	v_fmac_f32_e32 v0, 0xa7c234c4, v9
	s_branch .LBB5_7
.LBB5_58:
	s_endpgm
.LBB5_59:
                                        ; implicit-def: $sgpr2_sgpr3
	s_andn2_b64 vcc, exec, s[0:1]
	s_cbranch_vccz .LBB5_4
	s_branch .LBB5_5
	.section	.rodata,"a",@progbits
	.p2align	6, 0x0
	.amdhsa_kernel _ZN2at6native12_GLOBAL__N_143distribution_elementwise_grid_stride_kernelIfLi4EZNS0_9templates4cuda21uniform_and_transformIffPNS_17CUDAGeneratorImplEZZZNS4_13cauchy_kernelIS7_EEvRNS_18TensorIteratorBaseEddT_ENKUlvE_clEvENKUlvE0_clEvEUlfE_EEvSA_T1_T2_EUlP25hiprandStatePhilox4_32_10E_ZNS1_27distribution_nullary_kernelIff15HIP_vector_typeIdLj2EES7_SJ_SE_EEvSA_SG_RKT3_T4_EUlifE0_EEvlNS_15PhiloxCudaStateESF_SG_
		.amdhsa_group_segment_fixed_size 0
		.amdhsa_private_segment_fixed_size 0
		.amdhsa_kernarg_size 584
		.amdhsa_user_sgpr_count 6
		.amdhsa_user_sgpr_private_segment_buffer 1
		.amdhsa_user_sgpr_dispatch_ptr 0
		.amdhsa_user_sgpr_queue_ptr 0
		.amdhsa_user_sgpr_kernarg_segment_ptr 1
		.amdhsa_user_sgpr_dispatch_id 0
		.amdhsa_user_sgpr_flat_scratch_init 0
		.amdhsa_user_sgpr_kernarg_preload_length 0
		.amdhsa_user_sgpr_kernarg_preload_offset 0
		.amdhsa_user_sgpr_private_segment_size 0
		.amdhsa_uses_dynamic_stack 0
		.amdhsa_system_sgpr_private_segment_wavefront_offset 0
		.amdhsa_system_sgpr_workgroup_id_x 1
		.amdhsa_system_sgpr_workgroup_id_y 0
		.amdhsa_system_sgpr_workgroup_id_z 0
		.amdhsa_system_sgpr_workgroup_info 0
		.amdhsa_system_vgpr_workitem_id 0
		.amdhsa_next_free_vgpr 62
		.amdhsa_next_free_sgpr 77
		.amdhsa_accum_offset 64
		.amdhsa_reserve_vcc 1
		.amdhsa_reserve_flat_scratch 0
		.amdhsa_float_round_mode_32 0
		.amdhsa_float_round_mode_16_64 0
		.amdhsa_float_denorm_mode_32 3
		.amdhsa_float_denorm_mode_16_64 3
		.amdhsa_dx10_clamp 1
		.amdhsa_ieee_mode 1
		.amdhsa_fp16_overflow 0
		.amdhsa_tg_split 0
		.amdhsa_exception_fp_ieee_invalid_op 0
		.amdhsa_exception_fp_denorm_src 0
		.amdhsa_exception_fp_ieee_div_zero 0
		.amdhsa_exception_fp_ieee_overflow 0
		.amdhsa_exception_fp_ieee_underflow 0
		.amdhsa_exception_fp_ieee_inexact 0
		.amdhsa_exception_int_div_zero 0
	.end_amdhsa_kernel
	.section	.text._ZN2at6native12_GLOBAL__N_143distribution_elementwise_grid_stride_kernelIfLi4EZNS0_9templates4cuda21uniform_and_transformIffPNS_17CUDAGeneratorImplEZZZNS4_13cauchy_kernelIS7_EEvRNS_18TensorIteratorBaseEddT_ENKUlvE_clEvENKUlvE0_clEvEUlfE_EEvSA_T1_T2_EUlP25hiprandStatePhilox4_32_10E_ZNS1_27distribution_nullary_kernelIff15HIP_vector_typeIdLj2EES7_SJ_SE_EEvSA_SG_RKT3_T4_EUlifE0_EEvlNS_15PhiloxCudaStateESF_SG_,"axG",@progbits,_ZN2at6native12_GLOBAL__N_143distribution_elementwise_grid_stride_kernelIfLi4EZNS0_9templates4cuda21uniform_and_transformIffPNS_17CUDAGeneratorImplEZZZNS4_13cauchy_kernelIS7_EEvRNS_18TensorIteratorBaseEddT_ENKUlvE_clEvENKUlvE0_clEvEUlfE_EEvSA_T1_T2_EUlP25hiprandStatePhilox4_32_10E_ZNS1_27distribution_nullary_kernelIff15HIP_vector_typeIdLj2EES7_SJ_SE_EEvSA_SG_RKT3_T4_EUlifE0_EEvlNS_15PhiloxCudaStateESF_SG_,comdat
.Lfunc_end5:
	.size	_ZN2at6native12_GLOBAL__N_143distribution_elementwise_grid_stride_kernelIfLi4EZNS0_9templates4cuda21uniform_and_transformIffPNS_17CUDAGeneratorImplEZZZNS4_13cauchy_kernelIS7_EEvRNS_18TensorIteratorBaseEddT_ENKUlvE_clEvENKUlvE0_clEvEUlfE_EEvSA_T1_T2_EUlP25hiprandStatePhilox4_32_10E_ZNS1_27distribution_nullary_kernelIff15HIP_vector_typeIdLj2EES7_SJ_SE_EEvSA_SG_RKT3_T4_EUlifE0_EEvlNS_15PhiloxCudaStateESF_SG_, .Lfunc_end5-_ZN2at6native12_GLOBAL__N_143distribution_elementwise_grid_stride_kernelIfLi4EZNS0_9templates4cuda21uniform_and_transformIffPNS_17CUDAGeneratorImplEZZZNS4_13cauchy_kernelIS7_EEvRNS_18TensorIteratorBaseEddT_ENKUlvE_clEvENKUlvE0_clEvEUlfE_EEvSA_T1_T2_EUlP25hiprandStatePhilox4_32_10E_ZNS1_27distribution_nullary_kernelIff15HIP_vector_typeIdLj2EES7_SJ_SE_EEvSA_SG_RKT3_T4_EUlifE0_EEvlNS_15PhiloxCudaStateESF_SG_
                                        ; -- End function
	.section	.AMDGPU.csdata,"",@progbits
; Kernel info:
; codeLenInByte = 4984
; NumSgprs: 81
; NumVgprs: 62
; NumAgprs: 0
; TotalNumVgprs: 62
; ScratchSize: 0
; MemoryBound: 0
; FloatMode: 240
; IeeeMode: 1
; LDSByteSize: 0 bytes/workgroup (compile time only)
; SGPRBlocks: 10
; VGPRBlocks: 7
; NumSGPRsForWavesPerEU: 81
; NumVGPRsForWavesPerEU: 62
; AccumOffset: 64
; Occupancy: 8
; WaveLimiterHint : 1
; COMPUTE_PGM_RSRC2:SCRATCH_EN: 0
; COMPUTE_PGM_RSRC2:USER_SGPR: 6
; COMPUTE_PGM_RSRC2:TRAP_HANDLER: 0
; COMPUTE_PGM_RSRC2:TGID_X_EN: 1
; COMPUTE_PGM_RSRC2:TGID_Y_EN: 0
; COMPUTE_PGM_RSRC2:TGID_Z_EN: 0
; COMPUTE_PGM_RSRC2:TIDIG_COMP_CNT: 0
; COMPUTE_PGM_RSRC3_GFX90A:ACCUM_OFFSET: 15
; COMPUTE_PGM_RSRC3_GFX90A:TG_SPLIT: 0
	.section	.text._ZN2at6native12_GLOBAL__N_143distribution_elementwise_grid_stride_kernelIfLi4EZNS0_9templates4cuda21uniform_and_transformIffPNS_17CUDAGeneratorImplEZZZNS4_13cauchy_kernelIS7_EEvRNS_18TensorIteratorBaseEddT_ENKUlvE_clEvENKUlvE0_clEvEUlfE_EEvSA_T1_T2_EUlP25hiprandStatePhilox4_32_10E0_ZNS1_27distribution_nullary_kernelIff15HIP_vector_typeIfLj4EES7_SJ_SE_EEvSA_SG_RKT3_T4_EUlifE_EEvlNS_15PhiloxCudaStateESF_SG_,"axG",@progbits,_ZN2at6native12_GLOBAL__N_143distribution_elementwise_grid_stride_kernelIfLi4EZNS0_9templates4cuda21uniform_and_transformIffPNS_17CUDAGeneratorImplEZZZNS4_13cauchy_kernelIS7_EEvRNS_18TensorIteratorBaseEddT_ENKUlvE_clEvENKUlvE0_clEvEUlfE_EEvSA_T1_T2_EUlP25hiprandStatePhilox4_32_10E0_ZNS1_27distribution_nullary_kernelIff15HIP_vector_typeIfLj4EES7_SJ_SE_EEvSA_SG_RKT3_T4_EUlifE_EEvlNS_15PhiloxCudaStateESF_SG_,comdat
	.globl	_ZN2at6native12_GLOBAL__N_143distribution_elementwise_grid_stride_kernelIfLi4EZNS0_9templates4cuda21uniform_and_transformIffPNS_17CUDAGeneratorImplEZZZNS4_13cauchy_kernelIS7_EEvRNS_18TensorIteratorBaseEddT_ENKUlvE_clEvENKUlvE0_clEvEUlfE_EEvSA_T1_T2_EUlP25hiprandStatePhilox4_32_10E0_ZNS1_27distribution_nullary_kernelIff15HIP_vector_typeIfLj4EES7_SJ_SE_EEvSA_SG_RKT3_T4_EUlifE_EEvlNS_15PhiloxCudaStateESF_SG_ ; -- Begin function _ZN2at6native12_GLOBAL__N_143distribution_elementwise_grid_stride_kernelIfLi4EZNS0_9templates4cuda21uniform_and_transformIffPNS_17CUDAGeneratorImplEZZZNS4_13cauchy_kernelIS7_EEvRNS_18TensorIteratorBaseEddT_ENKUlvE_clEvENKUlvE0_clEvEUlfE_EEvSA_T1_T2_EUlP25hiprandStatePhilox4_32_10E0_ZNS1_27distribution_nullary_kernelIff15HIP_vector_typeIfLj4EES7_SJ_SE_EEvSA_SG_RKT3_T4_EUlifE_EEvlNS_15PhiloxCudaStateESF_SG_
	.p2align	8
	.type	_ZN2at6native12_GLOBAL__N_143distribution_elementwise_grid_stride_kernelIfLi4EZNS0_9templates4cuda21uniform_and_transformIffPNS_17CUDAGeneratorImplEZZZNS4_13cauchy_kernelIS7_EEvRNS_18TensorIteratorBaseEddT_ENKUlvE_clEvENKUlvE0_clEvEUlfE_EEvSA_T1_T2_EUlP25hiprandStatePhilox4_32_10E0_ZNS1_27distribution_nullary_kernelIff15HIP_vector_typeIfLj4EES7_SJ_SE_EEvSA_SG_RKT3_T4_EUlifE_EEvlNS_15PhiloxCudaStateESF_SG_,@function
_ZN2at6native12_GLOBAL__N_143distribution_elementwise_grid_stride_kernelIfLi4EZNS0_9templates4cuda21uniform_and_transformIffPNS_17CUDAGeneratorImplEZZZNS4_13cauchy_kernelIS7_EEvRNS_18TensorIteratorBaseEddT_ENKUlvE_clEvENKUlvE0_clEvEUlfE_EEvSA_T1_T2_EUlP25hiprandStatePhilox4_32_10E0_ZNS1_27distribution_nullary_kernelIff15HIP_vector_typeIfLj4EES7_SJ_SE_EEvSA_SG_RKT3_T4_EUlifE_EEvlNS_15PhiloxCudaStateESF_SG_: ; @_ZN2at6native12_GLOBAL__N_143distribution_elementwise_grid_stride_kernelIfLi4EZNS0_9templates4cuda21uniform_and_transformIffPNS_17CUDAGeneratorImplEZZZNS4_13cauchy_kernelIS7_EEvRNS_18TensorIteratorBaseEddT_ENKUlvE_clEvENKUlvE0_clEvEUlfE_EEvSA_T1_T2_EUlP25hiprandStatePhilox4_32_10E0_ZNS1_27distribution_nullary_kernelIff15HIP_vector_typeIfLj4EES7_SJ_SE_EEvSA_SG_RKT3_T4_EUlifE_EEvlNS_15PhiloxCudaStateESF_SG_
; %bb.0:
	s_load_dword s2, s[4:5], 0x20
	s_load_dwordx2 s[0:1], s[4:5], 0x10
	s_load_dwordx4 s[8:11], s[4:5], 0x0
	s_waitcnt lgkmcnt(0)
	s_bitcmp0_b32 s2, 0
	s_mov_b32 s2, 0
	v_pk_mov_b32 v[2:3], s[0:1], s[0:1] op_sel:[0,1]
	v_pk_mov_b32 v[12:13], s[10:11], s[10:11] op_sel:[0,1]
	s_cbranch_scc1 .LBB6_2
; %bb.1:
	v_pk_mov_b32 v[2:3], s[0:1], s[0:1] op_sel:[0,1]
	flat_load_dwordx2 v[2:3], v[2:3]
	v_pk_mov_b32 v[4:5], s[10:11], s[10:11] op_sel:[0,1]
	flat_load_dwordx2 v[12:13], v[4:5]
	s_load_dwordx2 s[0:1], s[4:5], 0x18
	s_waitcnt lgkmcnt(0)
	v_mov_b32_e32 v1, s1
	s_waitcnt vmcnt(0)
	v_add_co_u32_e32 v2, vcc, s0, v2
	v_addc_co_u32_e32 v3, vcc, v3, v1, vcc
.LBB6_2:
	s_load_dword s0, s[4:5], 0x54
	s_load_dword s18, s[4:5], 0x48
	s_waitcnt lgkmcnt(0)
	s_and_b32 s7, s0, 0xffff
	s_add_u32 s10, s8, -1
	s_mul_i32 s22, s18, s7
	s_addc_u32 s3, s9, -1
	s_lshl_b32 s23, s22, 2
	s_cmp_lg_u64 s[2:3], 0
	s_mov_b64 s[0:1], -1
	s_cbranch_scc0 .LBB6_43
; %bb.3:
	v_cvt_f32_u32_e32 v1, s23
	v_cvt_f32_ubyte0_e32 v4, 0
	s_sub_u32 s2, 0, s23
	s_subb_u32 s11, 0, 0
	v_madmk_f32 v1, v4, 0x4f800000, v1
	v_rcp_f32_e32 v1, v1
	v_mul_f32_e32 v1, 0x5f7ffffc, v1
	v_mul_f32_e32 v4, 0x2f800000, v1
	v_trunc_f32_e32 v4, v4
	v_madmk_f32 v1, v4, 0xcf800000, v1
	v_cvt_u32_f32_e32 v4, v4
	v_cvt_u32_f32_e32 v1, v1
	v_readfirstlane_b32 s12, v4
	v_readfirstlane_b32 s13, v1
	s_mul_i32 s14, s2, s12
	s_mul_hi_u32 s16, s2, s13
	s_mul_i32 s15, s11, s13
	s_add_i32 s14, s16, s14
	s_add_i32 s14, s14, s15
	s_mul_i32 s17, s2, s13
	s_mul_hi_u32 s15, s13, s14
	s_mul_i32 s16, s13, s14
	s_mul_hi_u32 s13, s13, s17
	s_add_u32 s13, s13, s16
	s_addc_u32 s15, 0, s15
	s_mul_hi_u32 s19, s12, s17
	s_mul_i32 s17, s12, s17
	s_add_u32 s13, s13, s17
	s_mul_hi_u32 s16, s12, s14
	s_addc_u32 s13, s15, s19
	s_addc_u32 s15, s16, 0
	s_mul_i32 s14, s12, s14
	s_add_u32 s13, s13, s14
	s_addc_u32 s14, 0, s15
	v_add_co_u32_e32 v1, vcc, s13, v1
	s_cmp_lg_u64 vcc, 0
	s_addc_u32 s12, s12, s14
	v_readfirstlane_b32 s14, v1
	s_mul_i32 s13, s2, s12
	s_mul_hi_u32 s15, s2, s14
	s_add_i32 s13, s15, s13
	s_mul_i32 s11, s11, s14
	s_add_i32 s13, s13, s11
	s_mul_i32 s2, s2, s14
	s_mul_hi_u32 s15, s12, s2
	s_mul_i32 s16, s12, s2
	s_mul_i32 s19, s14, s13
	s_mul_hi_u32 s2, s14, s2
	s_mul_hi_u32 s17, s14, s13
	s_add_u32 s2, s2, s19
	s_addc_u32 s14, 0, s17
	s_add_u32 s2, s2, s16
	s_mul_hi_u32 s11, s12, s13
	s_addc_u32 s2, s14, s15
	s_addc_u32 s11, s11, 0
	s_mul_i32 s13, s12, s13
	s_add_u32 s2, s2, s13
	s_addc_u32 s11, 0, s11
	v_add_co_u32_e32 v1, vcc, s2, v1
	s_cmp_lg_u64 vcc, 0
	s_addc_u32 s11, s12, s11
	s_ashr_i32 s12, s3, 31
	s_add_u32 s2, s10, s12
	s_mov_b32 s13, s12
	s_addc_u32 s3, s3, s12
	s_xor_b64 s[2:3], s[2:3], s[12:13]
	v_readfirstlane_b32 s16, v1
	s_mul_i32 s15, s2, s11
	s_mul_hi_u32 s17, s2, s16
	s_mul_hi_u32 s14, s2, s11
	s_add_u32 s15, s17, s15
	s_addc_u32 s14, 0, s14
	s_mul_hi_u32 s19, s3, s16
	s_mul_i32 s16, s3, s16
	s_add_u32 s15, s15, s16
	s_mul_hi_u32 s17, s3, s11
	s_addc_u32 s14, s14, s19
	s_addc_u32 s15, s17, 0
	s_mul_i32 s11, s3, s11
	s_add_u32 s11, s14, s11
	s_addc_u32 s14, 0, s15
	s_add_u32 s15, s11, 1
	s_addc_u32 s16, s14, 0
	s_add_u32 s17, s11, 2
	s_mul_i32 s20, s23, s14
	s_mul_hi_u32 s21, s23, s11
	s_addc_u32 s19, s14, 0
	s_add_i32 s21, s21, s20
	s_mul_i32 s20, s23, s11
	v_mov_b32_e32 v1, s20
	v_sub_co_u32_e32 v1, vcc, s2, v1
	s_cmp_lg_u64 vcc, 0
	s_subb_u32 s2, s3, s21
	v_subrev_co_u32_e32 v4, vcc, s23, v1
	s_cmp_lg_u64 vcc, 0
	s_subb_u32 s3, s2, 0
	v_readfirstlane_b32 s20, v4
	s_cmp_ge_u32 s20, s23
	s_cselect_b32 s20, -1, 0
	s_cmp_eq_u32 s3, 0
	s_cselect_b32 s3, s20, -1
	s_cmp_lg_u32 s3, 0
	s_cselect_b32 s3, s19, s16
	v_readfirstlane_b32 s16, v1
	s_cselect_b32 s15, s17, s15
	s_cmp_ge_u32 s16, s23
	s_cselect_b32 s16, -1, 0
	s_cmp_eq_u32 s2, 0
	s_cselect_b32 s2, s16, -1
	s_cmp_lg_u32 s2, 0
	s_cselect_b32 s3, s3, s14
	s_cselect_b32 s2, s15, s11
	s_xor_b64 s[2:3], s[2:3], s[12:13]
	s_sub_u32 s2, s2, s12
	s_subb_u32 s3, s3, s12
	s_cbranch_execnz .LBB6_5
.LBB6_4:
	v_cvt_f32_u32_e32 v1, s23
	s_sub_i32 s0, 0, s23
	s_mov_b32 s3, 0
	v_rcp_iflag_f32_e32 v1, v1
	v_mul_f32_e32 v1, 0x4f7ffffe, v1
	v_cvt_u32_f32_e32 v1, v1
	v_readfirstlane_b32 s1, v1
	s_mul_i32 s0, s0, s1
	s_mul_hi_u32 s0, s1, s0
	s_add_i32 s1, s1, s0
	s_mul_hi_u32 s0, s10, s1
	s_mul_i32 s2, s0, s23
	s_sub_i32 s2, s10, s2
	s_add_i32 s1, s0, 1
	s_sub_i32 s10, s2, s23
	s_cmp_ge_u32 s2, s23
	s_cselect_b32 s0, s1, s0
	s_cselect_b32 s2, s10, s2
	s_add_i32 s1, s0, 1
	s_cmp_ge_u32 s2, s23
	s_cselect_b32 s2, s1, s0
.LBB6_5:
	v_mov_b32_e32 v1, 0
	v_mov_b32_e32 v4, s6
	v_mad_u64_u32 v[14:15], s[0:1], s7, v4, v[0:1]
	s_add_u32 s0, s2, 1
	s_addc_u32 s1, s3, 0
	s_mul_hi_u32 s2, s18, s7
	s_mul_i32 s1, s22, s1
	s_mul_hi_u32 s3, s22, s0
	s_add_i32 s1, s3, s1
	s_mul_i32 s2, s2, s0
	s_add_i32 s1, s1, s2
	s_mul_i32 s0, s22, s0
	s_lshl_b64 s[10:11], s[0:1], 2
	v_cmp_gt_i64_e32 vcc, s[10:11], v[14:15]
	s_and_saveexec_b64 s[0:1], vcc
	s_cbranch_execz .LBB6_42
; %bb.6:
	s_mov_b32 s0, 0x5384540f
	v_mov_b32_e32 v4, v13
	v_add_co_u32_e32 v22, vcc, s0, v12
	s_mov_b32 s0, 0x646e171e
	v_add_co_u32_e32 v23, vcc, s0, v4
	s_mov_b32 s0, 0x1715609d
	;; [unrolled: 2-line block ×6, first 2 shown]
	v_alignbit_b32 v29, v3, v2, 2
	s_mov_b32 s24, 0xd2511f53
	v_add_co_u32_e32 v28, vcc, s0, v12
	v_mad_u64_u32 v[6:7], s[0:1], v29, s24, 0
	v_and_b32_e32 v18, 3, v2
	v_xor_b32_e32 v2, v7, v13
	v_xor_b32_e32 v2, v2, v15
	s_mov_b32 s25, 0xcd9e8d57
	v_mad_u64_u32 v[8:9], s[0:1], v2, s25, 0
	v_xor_b32_e32 v2, v28, v9
	v_mad_u64_u32 v[10:11], s[0:1], v14, s25, 0
	v_xor_b32_e32 v2, v2, v10
	;; [unrolled: 2-line block ×3, first 2 shown]
	v_lshrrev_b32_e32 v30, 2, v3
	v_xor_b32_e32 v2, v2, v30
	v_xor_b32_e32 v5, v27, v17
	v_mad_u64_u32 v[2:3], s[0:1], v2, s24, 0
	v_xor_b32_e32 v2, v5, v2
	v_mad_u64_u32 v[10:11], s[0:1], v2, s25, 0
	s_mov_b32 s0, 0xbb67ae85
	v_add_co_u32_e32 v31, vcc, s0, v4
	v_xor_b32_e32 v2, v31, v3
	v_xor_b32_e32 v2, v2, v6
	v_xor_b32_e32 v5, v26, v11
	v_mad_u64_u32 v[2:3], s[0:1], v2, s25, 0
	v_xor_b32_e32 v2, v5, v2
	v_mad_u64_u32 v[6:7], s[0:1], v2, s24, 0
	s_mov_b32 s0, 0x3c6ef372
	v_add_co_u32_e32 v32, vcc, s0, v12
	v_xor_b32_e32 v2, v32, v3
	;; [unrolled: 8-line block ×6, first 2 shown]
	v_add_co_u32_e32 v21, vcc, 0xdb3d7428, v4
	v_xor_b32_e32 v2, v2, v8
	v_xor_b32_e32 v5, v21, v41
	v_mad_u64_u32 v[2:3], s[0:1], v2, s24, 0
	v_xor_b32_e32 v2, v5, v2
	v_mad_u64_u32 v[42:43], s[0:1], v2, s25, 0
	s_mov_b32 s0, 0x1fd5c5a3
	v_add_co_u32_e32 v37, vcc, s0, v4
	v_xor_b32_e32 v2, v37, v3
	v_xor_b32_e32 v2, v2, v16
	v_mad_u64_u32 v[2:3], s[0:1], v2, s25, 0
	s_mov_b32 s0, 0xf1bbcdc8
	v_add_u32_e32 v19, 0x8ff34781, v12
	v_xor_b32_e32 v2, v43, v2
	v_add_co_u32_e32 v38, vcc, s0, v12
	s_load_dwordx4 s[12:15], s[4:5], 0x38
	s_load_dwordx2 s[16:17], s[4:5], 0x30
	v_xor_b32_e32 v6, v19, v2
	v_xor_b32_e32 v2, v38, v3
	;; [unrolled: 1-line block ×3, first 2 shown]
	v_mad_u64_u32 v[2:3], s[0:1], v2, s24, 0
	s_mul_i32 s0, s6, s7
	v_mov_b32_e32 v9, v2
	v_add_u32_e32 v2, s0, v0
	s_waitcnt lgkmcnt(0)
	s_mul_i32 s0, s18, s12
	s_mul_i32 s0, s0, s7
	s_lshl_b32 s30, s0, 2
	s_mul_i32 s0, s18, 3
	s_add_i32 s0, s6, s0
	s_mul_i32 s0, s0, s7
	v_mul_lo_u32 v39, s12, v2
	v_add_u32_e32 v2, s0, v0
	s_lshl_b32 s0, s18, 1
	s_add_i32 s0, s6, s0
	s_mul_i32 s0, s0, s7
	v_xor_b32_e32 v3, v3, v40
	v_mul_lo_u32 v40, s12, v2
	v_add_u32_e32 v2, s0, v0
	s_add_i32 s0, s6, s18
	s_mul_i32 s0, s0, s7
	s_mov_b32 s15, 0
	v_add_u32_e32 v20, 0x96a522ad, v13
	v_add_u32_e32 v0, s0, v0
	v_xor_b32_e32 v8, v20, v3
	v_mov_b32_e32 v7, v42
	s_lshl_b32 s26, s22, 1
	s_mov_b32 s27, s15
	s_mul_i32 s28, s22, 3
	s_mov_b32 s29, s15
	v_mul_lo_u32 v41, s12, v2
	v_mul_lo_u32 v42, s12, v0
	s_mov_b64 s[6:7], 0
	s_mov_b32 s12, 0x3f7ffffe
	s_brev_b32 s31, 44
	s_brev_b32 s33, 18
	s_mov_b32 s34, 0xfe5163ab
	s_mov_b32 s35, 0x3c439041
	;; [unrolled: 1-line block ×10, first 2 shown]
	v_mov_b32_e32 v43, 0x3f93f425
	s_movk_i32 s44, 0x1f8
	v_mov_b32_e32 v44, 0x3f7ffffe
	v_bfrev_b32_e32 v45, 44
	v_not_b32_e32 v46, 63
	v_not_b32_e32 v47, 31
	v_mov_b32_e32 v48, 0x7fc00000
	s_mov_b32 s45, s15
	v_mov_b32_e32 v49, v14
	v_mov_b32_e32 v50, v15
	s_branch .LBB6_9
.LBB6_7:                                ;   in Loop: Header=BB6_9 Depth=1
	s_or_b64 exec, exec, s[0:1]
	v_mul_f32_e32 v11, v0, v0
	v_mov_b32_e32 v17, 0xbf039337
	v_fmac_f32_e32 v17, 0x3c971480, v11
	v_fma_f32 v17, v11, v17, v43
	v_add_u32_e32 v8, s45, v40
	v_rcp_f32_e32 v17, v17
	v_ashrrev_i32_e32 v9, 31, v8
	v_mov_b32_e32 v10, s17
	v_add_co_u32_e32 v8, vcc, s16, v8
	v_addc_co_u32_e32 v9, vcc, v10, v9, vcc
	v_mov_b32_e32 v10, 0x3ec54587
	v_fmac_f32_e32 v10, 0xbc8cedd3, v11
	v_mul_f32_e32 v10, v10, v17
	v_mul_f32_e32 v10, v11, v10
	v_fma_f32 v11, v10, v0, v0
	v_rcp_f32_e32 v17, v11
	v_sub_f32_e32 v51, v11, v0
	v_fma_f32 v0, v10, v0, -v51
	v_and_b32_e32 v7, 1, v7
	v_fma_f32 v10, v11, -v17, 1.0
	v_fma_f32 v0, v0, -v17, v10
	v_fma_f32 v0, v0, -v17, -v17
	v_cmp_eq_u32_e32 vcc, 0, v7
	v_cndmask_b32_e32 v0, v0, v11, vcc
	v_xor_b32_e32 v6, v6, v5
	v_xor_b32_e32 v0, v6, v0
	v_cmp_class_f32_e64 vcc, v5, s44
	v_cndmask_b32_e32 v0, v48, v0, vcc
	v_mov_b32_e32 v5, s13
	v_fma_f32 v0, s14, v0, v5
	global_store_dword v[8:9], v0, off
.LBB6_8:                                ;   in Loop: Header=BB6_9 Depth=1
	s_or_b64 exec, exec, s[18:19]
	v_add_co_u32_e32 v14, vcc, s23, v14
	v_mov_b32_e32 v5, v16
	v_addc_co_u32_e32 v15, vcc, 0, v15, vcc
	s_add_i32 s45, s45, s30
	v_cmp_le_i64_e32 vcc, s[10:11], v[14:15]
	v_pk_mov_b32 v[8:9], v[4:5], v[4:5] op_sel:[0,1]
	s_or_b64 s[6:7], vcc, s[6:7]
	v_pk_mov_b32 v[6:7], v[2:3], v[2:3] op_sel:[0,1]
	s_barrier
	s_andn2_b64 exec, exec, s[6:7]
	s_cbranch_execz .LBB6_42
.LBB6_9:                                ; =>This Inner Loop Header: Depth=1
	v_add_co_u32_e32 v29, vcc, 1, v29
	v_cndmask_b32_e64 v0, 0, 1, vcc
	v_addc_co_u32_e32 v30, vcc, 0, v30, vcc
	v_cmp_eq_u32_e32 vcc, 0, v30
	v_cndmask_b32_e32 v0, 0, v0, vcc
	v_add_u32_e32 v49, v0, v49
	v_cmp_eq_u32_e32 vcc, 0, v49
	v_cndmask_b32_e32 v0, 0, v0, vcc
	v_mad_u64_u32 v[2:3], s[0:1], v29, s24, 0
	v_mad_u64_u32 v[4:5], s[0:1], v49, s25, 0
	v_add_u32_e32 v50, v0, v50
	v_xor_b32_e32 v0, v5, v12
	v_xor_b32_e32 v3, v3, v13
	v_xor_b32_e32 v0, v30, v0
	v_xor_b32_e32 v3, v50, v3
	v_mad_u64_u32 v[10:11], s[0:1], v0, s24, 0
	v_mad_u64_u32 v[16:17], s[0:1], v3, s25, 0
	v_xor_b32_e32 v0, v28, v17
	v_xor_b32_e32 v3, v31, v11
	v_xor_b32_e32 v0, v0, v4
	v_xor_b32_e32 v4, v3, v2
	v_mad_u64_u32 v[2:3], s[0:1], v0, s24, 0
	v_mad_u64_u32 v[4:5], s[0:1], v4, s25, 0
	;; [unrolled: 6-line block ×9, first 2 shown]
	v_xor_b32_e32 v0, v11, v2
	v_xor_b32_e32 v2, v19, v0
	;; [unrolled: 1-line block ×4, first 2 shown]
	v_mov_b32_e32 v3, v10
	v_mov_b32_e32 v4, v11
	v_cmp_lt_i32_e32 vcc, 1, v18
	s_and_saveexec_b64 s[0:1], vcc
	s_xor_b64 s[0:1], exec, s[0:1]
	s_cbranch_execnz .LBB6_12
; %bb.10:                               ;   in Loop: Header=BB6_9 Depth=1
	s_andn2_saveexec_b64 s[0:1], s[0:1]
	s_cbranch_execnz .LBB6_17
.LBB6_11:                               ;   in Loop: Header=BB6_9 Depth=1
	s_or_b64 exec, exec, s[0:1]
	v_cmp_gt_i64_e32 vcc, s[8:9], v[14:15]
	s_and_saveexec_b64 s[18:19], vcc
	s_cbranch_execnz .LBB6_20
	s_branch .LBB6_25
.LBB6_12:                               ;   in Loop: Header=BB6_9 Depth=1
	v_cmp_lt_i32_e32 vcc, 2, v18
	s_and_saveexec_b64 s[2:3], vcc
	s_xor_b64 s[2:3], exec, s[2:3]
; %bb.13:                               ;   in Loop: Header=BB6_9 Depth=1
	v_mov_b32_e32 v8, v9
	v_mov_b32_e32 v9, v2
	v_pk_mov_b32 v[6:7], v[8:9], v[8:9] op_sel:[0,1]
	v_pk_mov_b32 v[8:9], v[10:11], v[10:11] op_sel:[0,1]
                                        ; implicit-def: $vgpr10_vgpr11
; %bb.14:                               ;   in Loop: Header=BB6_9 Depth=1
	s_andn2_saveexec_b64 s[2:3], s[2:3]
; %bb.15:                               ;   in Loop: Header=BB6_9 Depth=1
	v_mov_b32_e32 v6, v8
	v_mov_b32_e32 v7, v9
	;; [unrolled: 1-line block ×4, first 2 shown]
; %bb.16:                               ;   in Loop: Header=BB6_9 Depth=1
	s_or_b64 exec, exec, s[2:3]
	s_andn2_saveexec_b64 s[0:1], s[0:1]
	s_cbranch_execz .LBB6_11
.LBB6_17:                               ;   in Loop: Header=BB6_9 Depth=1
	v_cmp_eq_u32_e32 vcc, 1, v18
	s_and_saveexec_b64 s[2:3], vcc
; %bb.18:                               ;   in Loop: Header=BB6_9 Depth=1
	v_mov_b32_e32 v6, v7
	v_mov_b32_e32 v7, v8
	;; [unrolled: 1-line block ×4, first 2 shown]
; %bb.19:                               ;   in Loop: Header=BB6_9 Depth=1
	s_or_b64 exec, exec, s[2:3]
	s_or_b64 exec, exec, s[0:1]
	v_cmp_gt_i64_e32 vcc, s[8:9], v[14:15]
	s_and_saveexec_b64 s[18:19], vcc
	s_cbranch_execz .LBB6_25
.LBB6_20:                               ;   in Loop: Header=BB6_9 Depth=1
	v_cvt_f32_u32_e32 v0, v6
	v_mov_b32_e32 v5, 0x2f800000
                                        ; implicit-def: $vgpr10
	v_fmac_f32_e32 v5, 0x2f800000, v0
	v_cmp_nlt_f32_e32 vcc, s12, v5
	v_cndmask_b32_e32 v0, v44, v5, vcc
	v_cmp_ngt_f32_e32 vcc, s31, v0
	v_cndmask_b32_e32 v0, v45, v0, vcc
	v_add_f32_e32 v0, -0.5, v0
	v_mul_f32_e32 v5, 0x40490fdb, v0
	v_and_b32_e32 v6, 0x7fffffff, v5
	v_cmp_nlt_f32_e64 s[0:1], |v5|, s33
                                        ; implicit-def: $vgpr0
	s_and_saveexec_b64 s[2:3], s[0:1]
	s_xor_b64 s[20:21], exec, s[2:3]
	s_cbranch_execz .LBB6_22
; %bb.21:                               ;   in Loop: Header=BB6_9 Depth=1
	v_lshrrev_b32_e32 v0, 23, v6
	v_add_u32_e32 v0, 0xffffff88, v0
	v_cmp_lt_u32_e32 vcc, 63, v0
	v_cndmask_b32_e32 v10, 0, v46, vcc
	v_add_u32_e32 v0, v10, v0
	v_cmp_lt_u32_e64 s[0:1], 31, v0
	v_cndmask_b32_e64 v10, 0, v47, s[0:1]
	v_add_u32_e32 v0, v10, v0
	v_cmp_lt_u32_e64 s[2:3], 31, v0
	v_cndmask_b32_e64 v10, 0, v47, s[2:3]
	v_add_u32_e32 v17, v10, v0
	v_and_b32_e32 v0, 0x7fffff, v6
	v_or_b32_e32 v51, 0x800000, v0
	v_mad_u64_u32 v[10:11], s[4:5], v51, s34, 0
	v_mov_b32_e32 v0, v11
	v_mad_u64_u32 v[52:53], s[4:5], v51, s35, v[0:1]
	v_mov_b32_e32 v0, v53
	v_mad_u64_u32 v[54:55], s[4:5], v51, s36, v[0:1]
	v_mov_b32_e32 v0, v55
	v_mad_u64_u32 v[56:57], s[4:5], v51, s37, v[0:1]
	v_mov_b32_e32 v0, v57
	v_mad_u64_u32 v[58:59], s[4:5], v51, s38, v[0:1]
	v_mov_b32_e32 v0, v59
	v_mad_u64_u32 v[60:61], s[4:5], v51, s39, v[0:1]
	v_mov_b32_e32 v0, v61
	v_mad_u64_u32 v[62:63], s[4:5], v51, s40, v[0:1]
	v_cndmask_b32_e32 v11, v60, v56, vcc
	v_cndmask_b32_e32 v0, v62, v58, vcc
	;; [unrolled: 1-line block ×3, first 2 shown]
	v_cndmask_b32_e64 v51, v0, v11, s[0:1]
	v_cndmask_b32_e64 v0, v53, v0, s[0:1]
	v_cndmask_b32_e32 v53, v58, v54, vcc
	v_cndmask_b32_e64 v11, v11, v53, s[0:1]
	v_cndmask_b32_e64 v0, v0, v51, s[2:3]
	;; [unrolled: 1-line block ×3, first 2 shown]
	v_sub_u32_e32 v55, 32, v17
	v_alignbit_b32 v57, v0, v51, v55
	v_cmp_eq_u32_e64 s[4:5], 0, v17
	v_cndmask_b32_e64 v17, v57, v0, s[4:5]
	v_cndmask_b32_e32 v0, v56, v52, vcc
	v_cndmask_b32_e64 v52, v53, v0, s[0:1]
	v_cndmask_b32_e64 v11, v11, v52, s[2:3]
	v_cndmask_b32_e32 v10, v54, v10, vcc
	v_alignbit_b32 v53, v51, v11, v55
	v_cndmask_b32_e64 v0, v0, v10, s[0:1]
	v_cndmask_b32_e64 v51, v53, v51, s[4:5]
	v_bfe_u32 v57, v17, 29, 1
	v_cndmask_b32_e64 v0, v52, v0, s[2:3]
	v_alignbit_b32 v53, v17, v51, 30
	v_sub_u32_e32 v58, 0, v57
	v_alignbit_b32 v10, v11, v0, v55
	v_xor_b32_e32 v59, v53, v58
	v_cndmask_b32_e64 v10, v10, v11, s[4:5]
	v_alignbit_b32 v11, v51, v10, 30
	v_ffbh_u32_e32 v51, v59
	v_add_u32_e32 v51, 1, v51
	v_cmp_ne_u32_e32 vcc, v53, v58
	v_cndmask_b32_e32 v51, 33, v51, vcc
	v_alignbit_b32 v0, v10, v0, 30
	v_xor_b32_e32 v11, v11, v58
	v_sub_u32_e32 v52, 32, v51
	v_xor_b32_e32 v0, v0, v58
	v_alignbit_b32 v53, v59, v11, v52
	v_alignbit_b32 v0, v11, v0, v52
	;; [unrolled: 1-line block ×3, first 2 shown]
	v_ffbh_u32_e32 v11, v10
	v_min_u32_e32 v11, 32, v11
	v_lshrrev_b32_e32 v56, 29, v17
	v_sub_u32_e32 v52, 31, v11
	v_alignbit_b32 v0, v10, v0, v52
	v_lshlrev_b32_e32 v10, 31, v56
	v_or_b32_e32 v52, 0x33800000, v10
	v_add_lshl_u32 v11, v11, v51, 23
	v_lshrrev_b32_e32 v0, 9, v0
	v_sub_u32_e32 v11, v52, v11
	v_or_b32_e32 v0, v11, v0
	v_alignbit_b32 v11, v51, v53, 9
	v_or_b32_e32 v10, v11, v10
	v_xor_b32_e32 v10, 1.0, v10
	v_mul_f32_e32 v11, 0x3fc90fda, v10
	v_fma_f32 v51, v10, s41, -v11
	v_fmac_f32_e32 v51, 0x33a22168, v10
	v_fmac_f32_e32 v51, 0x3fc90fda, v0
	v_lshrrev_b32_e32 v10, 30, v17
	v_add_f32_e32 v0, v11, v51
	v_add_u32_e32 v10, v57, v10
.LBB6_22:                               ;   in Loop: Header=BB6_9 Depth=1
	s_andn2_saveexec_b64 s[0:1], s[20:21]
; %bb.23:                               ;   in Loop: Header=BB6_9 Depth=1
	v_mul_f32_e64 v0, |v5|, s42
	v_rndne_f32_e32 v11, v0
	v_cvt_i32_f32_e32 v10, v11
	v_fma_f32 v0, v11, s43, |v5|
	v_fmac_f32_e32 v0, 0xb3a22168, v11
	v_fmac_f32_e32 v0, 0xa7c234c4, v11
; %bb.24:                               ;   in Loop: Header=BB6_9 Depth=1
	s_or_b64 exec, exec, s[0:1]
	v_mul_f32_e32 v54, v0, v0
	v_mov_b32_e32 v52, 0xbf039337
	v_fmac_f32_e32 v52, 0x3c971480, v54
	v_fma_f32 v52, v54, v52, v43
	v_rcp_f32_e32 v55, v52
	v_add_u32_e32 v11, s45, v39
	v_ashrrev_i32_e32 v17, 31, v11
	v_add_co_u32_e32 v52, vcc, s16, v11
	v_mov_b32_e32 v11, 0x3ec54587
	v_fmac_f32_e32 v11, 0xbc8cedd3, v54
	v_mul_f32_e32 v11, v11, v55
	v_mov_b32_e32 v51, s17
	v_mul_f32_e32 v11, v54, v11
	v_addc_co_u32_e32 v53, vcc, v51, v17, vcc
	v_fma_f32 v17, v11, v0, v0
	v_rcp_f32_e32 v51, v17
	v_sub_f32_e32 v54, v17, v0
	v_fma_f32 v0, v11, v0, -v54
	v_and_b32_e32 v10, 1, v10
	v_fma_f32 v11, v17, -v51, 1.0
	v_fma_f32 v0, v0, -v51, v11
	v_fma_f32 v0, v0, -v51, -v51
	v_cmp_eq_u32_e32 vcc, 0, v10
	v_cndmask_b32_e32 v0, v0, v17, vcc
	v_xor_b32_e32 v6, v6, v5
	v_xor_b32_e32 v0, v6, v0
	v_cmp_class_f32_e64 vcc, v5, s44
	v_cndmask_b32_e32 v0, v48, v0, vcc
	v_mov_b32_e32 v5, s13
	v_fma_f32 v0, s14, v0, v5
	global_store_dword v[52:53], v0, off
.LBB6_25:                               ;   in Loop: Header=BB6_9 Depth=1
	s_or_b64 exec, exec, s[18:19]
	v_mov_b32_e32 v0, s15
	v_add_co_u32_e32 v10, vcc, s22, v14
	v_addc_co_u32_e32 v11, vcc, v0, v15, vcc
	v_cmp_gt_i64_e32 vcc, s[8:9], v[10:11]
	s_and_saveexec_b64 s[18:19], vcc
	s_cbranch_execz .LBB6_31
; %bb.26:                               ;   in Loop: Header=BB6_9 Depth=1
	v_cvt_f32_u32_e32 v0, v7
	v_mov_b32_e32 v5, 0x2f800000
                                        ; implicit-def: $vgpr7
	v_fmac_f32_e32 v5, 0x2f800000, v0
	v_cmp_nlt_f32_e32 vcc, s12, v5
	v_cndmask_b32_e32 v0, v44, v5, vcc
	v_cmp_ngt_f32_e32 vcc, s31, v0
	v_cndmask_b32_e32 v0, v45, v0, vcc
	v_add_f32_e32 v0, -0.5, v0
	v_mul_f32_e32 v5, 0x40490fdb, v0
	v_and_b32_e32 v6, 0x7fffffff, v5
	v_cmp_nlt_f32_e64 s[0:1], |v5|, s33
                                        ; implicit-def: $vgpr0
	s_and_saveexec_b64 s[2:3], s[0:1]
	s_xor_b64 s[20:21], exec, s[2:3]
	s_cbranch_execz .LBB6_28
; %bb.27:                               ;   in Loop: Header=BB6_9 Depth=1
	v_lshrrev_b32_e32 v0, 23, v6
	v_add_u32_e32 v0, 0xffffff88, v0
	v_cmp_lt_u32_e32 vcc, 63, v0
	v_cndmask_b32_e32 v7, 0, v46, vcc
	v_add_u32_e32 v0, v7, v0
	v_cmp_lt_u32_e64 s[0:1], 31, v0
	v_cndmask_b32_e64 v7, 0, v47, s[0:1]
	v_add_u32_e32 v0, v7, v0
	v_cmp_lt_u32_e64 s[2:3], 31, v0
	v_cndmask_b32_e64 v7, 0, v47, s[2:3]
	v_add_u32_e32 v7, v7, v0
	v_and_b32_e32 v0, 0x7fffff, v6
	v_or_b32_e32 v17, 0x800000, v0
	v_mad_u64_u32 v[10:11], s[4:5], v17, s34, 0
	v_mov_b32_e32 v0, v11
	v_mad_u64_u32 v[52:53], s[4:5], v17, s35, v[0:1]
	v_mov_b32_e32 v0, v53
	;; [unrolled: 2-line block ×6, first 2 shown]
	v_mad_u64_u32 v[62:63], s[4:5], v17, s40, v[0:1]
	v_cndmask_b32_e32 v11, v60, v56, vcc
	v_cndmask_b32_e32 v0, v62, v58, vcc
	;; [unrolled: 1-line block ×3, first 2 shown]
	v_cndmask_b32_e64 v17, v0, v11, s[0:1]
	v_cndmask_b32_e64 v0, v51, v0, s[0:1]
	v_cndmask_b32_e32 v51, v58, v54, vcc
	v_cndmask_b32_e64 v11, v11, v51, s[0:1]
	v_cndmask_b32_e64 v0, v0, v17, s[2:3]
	;; [unrolled: 1-line block ×3, first 2 shown]
	v_sub_u32_e32 v53, 32, v7
	v_alignbit_b32 v55, v0, v17, v53
	v_cmp_eq_u32_e64 s[4:5], 0, v7
	v_cndmask_b32_e64 v7, v55, v0, s[4:5]
	v_cndmask_b32_e32 v0, v56, v52, vcc
	v_cndmask_b32_e64 v51, v51, v0, s[0:1]
	v_cndmask_b32_e64 v11, v11, v51, s[2:3]
	v_cndmask_b32_e32 v10, v54, v10, vcc
	v_alignbit_b32 v52, v17, v11, v53
	v_cndmask_b32_e64 v0, v0, v10, s[0:1]
	v_cndmask_b32_e64 v17, v52, v17, s[4:5]
	v_bfe_u32 v56, v7, 29, 1
	v_cndmask_b32_e64 v0, v51, v0, s[2:3]
	v_alignbit_b32 v52, v7, v17, 30
	v_sub_u32_e32 v57, 0, v56
	v_alignbit_b32 v10, v11, v0, v53
	v_xor_b32_e32 v58, v52, v57
	v_cndmask_b32_e64 v10, v10, v11, s[4:5]
	v_alignbit_b32 v11, v17, v10, 30
	v_ffbh_u32_e32 v17, v58
	v_add_u32_e32 v17, 1, v17
	v_cmp_ne_u32_e32 vcc, v52, v57
	v_cndmask_b32_e32 v17, 33, v17, vcc
	v_alignbit_b32 v0, v10, v0, 30
	v_xor_b32_e32 v11, v11, v57
	v_sub_u32_e32 v51, 32, v17
	v_xor_b32_e32 v0, v0, v57
	v_alignbit_b32 v52, v58, v11, v51
	v_alignbit_b32 v0, v11, v0, v51
	v_alignbit_b32 v10, v52, v0, 9
	v_ffbh_u32_e32 v11, v10
	v_min_u32_e32 v11, 32, v11
	v_lshrrev_b32_e32 v55, 29, v7
	v_sub_u32_e32 v51, 31, v11
	v_alignbit_b32 v0, v10, v0, v51
	v_lshlrev_b32_e32 v10, 31, v55
	v_or_b32_e32 v51, 0x33800000, v10
	v_add_lshl_u32 v11, v11, v17, 23
	v_lshrrev_b32_e32 v0, 9, v0
	v_sub_u32_e32 v11, v51, v11
	v_or_b32_e32 v0, v11, v0
	v_alignbit_b32 v11, v17, v52, 9
	v_or_b32_e32 v10, v11, v10
	v_xor_b32_e32 v10, 1.0, v10
	v_mul_f32_e32 v11, 0x3fc90fda, v10
	v_fma_f32 v17, v10, s41, -v11
	v_fmac_f32_e32 v17, 0x33a22168, v10
	v_fmac_f32_e32 v17, 0x3fc90fda, v0
	v_lshrrev_b32_e32 v7, 30, v7
	v_add_f32_e32 v0, v11, v17
	v_add_u32_e32 v7, v56, v7
.LBB6_28:                               ;   in Loop: Header=BB6_9 Depth=1
	s_andn2_saveexec_b64 s[0:1], s[20:21]
; %bb.29:                               ;   in Loop: Header=BB6_9 Depth=1
	v_mul_f32_e64 v0, |v5|, s42
	v_rndne_f32_e32 v10, v0
	v_cvt_i32_f32_e32 v7, v10
	v_fma_f32 v0, v10, s43, |v5|
	v_fmac_f32_e32 v0, 0xb3a22168, v10
	v_fmac_f32_e32 v0, 0xa7c234c4, v10
; %bb.30:                               ;   in Loop: Header=BB6_9 Depth=1
	s_or_b64 exec, exec, s[0:1]
	v_mul_f32_e32 v51, v0, v0
	v_mov_b32_e32 v52, 0xbf039337
	v_fmac_f32_e32 v52, 0x3c971480, v51
	v_fma_f32 v52, v51, v52, v43
	v_add_u32_e32 v10, s45, v42
	v_rcp_f32_e32 v52, v52
	v_ashrrev_i32_e32 v11, 31, v10
	v_mov_b32_e32 v17, s17
	v_add_co_u32_e32 v10, vcc, s16, v10
	v_addc_co_u32_e32 v11, vcc, v17, v11, vcc
	v_mov_b32_e32 v17, 0x3ec54587
	v_fmac_f32_e32 v17, 0xbc8cedd3, v51
	v_mul_f32_e32 v17, v17, v52
	v_mul_f32_e32 v17, v51, v17
	v_fma_f32 v51, v17, v0, v0
	v_rcp_f32_e32 v52, v51
	v_sub_f32_e32 v53, v51, v0
	v_fma_f32 v0, v17, v0, -v53
	v_and_b32_e32 v7, 1, v7
	v_fma_f32 v17, v51, -v52, 1.0
	v_fma_f32 v0, v0, -v52, v17
	v_fma_f32 v0, v0, -v52, -v52
	v_cmp_eq_u32_e32 vcc, 0, v7
	v_cndmask_b32_e32 v0, v0, v51, vcc
	v_xor_b32_e32 v6, v6, v5
	v_xor_b32_e32 v0, v6, v0
	v_cmp_class_f32_e64 vcc, v5, s44
	v_cndmask_b32_e32 v0, v48, v0, vcc
	v_mov_b32_e32 v5, s13
	v_fma_f32 v0, s14, v0, v5
	global_store_dword v[10:11], v0, off
.LBB6_31:                               ;   in Loop: Header=BB6_9 Depth=1
	s_or_b64 exec, exec, s[18:19]
	v_mov_b32_e32 v0, s27
	v_add_co_u32_e32 v6, vcc, s26, v14
	v_addc_co_u32_e32 v7, vcc, v0, v15, vcc
	v_cmp_gt_i64_e32 vcc, s[8:9], v[6:7]
	s_and_saveexec_b64 s[18:19], vcc
	s_cbranch_execz .LBB6_37
; %bb.32:                               ;   in Loop: Header=BB6_9 Depth=1
	v_cvt_f32_u32_e32 v0, v8
	v_mov_b32_e32 v5, 0x2f800000
                                        ; implicit-def: $vgpr7
	v_fmac_f32_e32 v5, 0x2f800000, v0
	v_cmp_nlt_f32_e32 vcc, s12, v5
	v_cndmask_b32_e32 v0, v44, v5, vcc
	v_cmp_ngt_f32_e32 vcc, s31, v0
	v_cndmask_b32_e32 v0, v45, v0, vcc
	v_add_f32_e32 v0, -0.5, v0
	v_mul_f32_e32 v5, 0x40490fdb, v0
	v_and_b32_e32 v6, 0x7fffffff, v5
	v_cmp_nlt_f32_e64 s[0:1], |v5|, s33
                                        ; implicit-def: $vgpr0
	s_and_saveexec_b64 s[2:3], s[0:1]
	s_xor_b64 s[20:21], exec, s[2:3]
	s_cbranch_execz .LBB6_34
; %bb.33:                               ;   in Loop: Header=BB6_9 Depth=1
	v_lshrrev_b32_e32 v0, 23, v6
	v_add_u32_e32 v0, 0xffffff88, v0
	v_cmp_lt_u32_e32 vcc, 63, v0
	v_cndmask_b32_e32 v7, 0, v46, vcc
	v_add_u32_e32 v0, v7, v0
	v_cmp_lt_u32_e64 s[0:1], 31, v0
	v_cndmask_b32_e64 v7, 0, v47, s[0:1]
	v_add_u32_e32 v0, v7, v0
	v_cmp_lt_u32_e64 s[2:3], 31, v0
	v_cndmask_b32_e64 v7, 0, v47, s[2:3]
	v_add_u32_e32 v7, v7, v0
	v_and_b32_e32 v0, 0x7fffff, v6
	v_or_b32_e32 v8, 0x800000, v0
	v_mad_u64_u32 v[10:11], s[4:5], v8, s34, 0
	v_mov_b32_e32 v0, v11
	v_mad_u64_u32 v[52:53], s[4:5], v8, s35, v[0:1]
	v_mov_b32_e32 v0, v53
	;; [unrolled: 2-line block ×6, first 2 shown]
	v_mad_u64_u32 v[62:63], s[4:5], v8, s40, v[0:1]
	v_cndmask_b32_e32 v11, v60, v56, vcc
	v_cndmask_b32_e32 v0, v62, v58, vcc
	;; [unrolled: 1-line block ×3, first 2 shown]
	v_cndmask_b32_e64 v8, v0, v11, s[0:1]
	v_cndmask_b32_e64 v0, v17, v0, s[0:1]
	v_cndmask_b32_e32 v17, v58, v54, vcc
	v_cndmask_b32_e64 v11, v11, v17, s[0:1]
	v_cndmask_b32_e64 v0, v0, v8, s[2:3]
	;; [unrolled: 1-line block ×3, first 2 shown]
	v_sub_u32_e32 v51, 32, v7
	v_alignbit_b32 v53, v0, v8, v51
	v_cmp_eq_u32_e64 s[4:5], 0, v7
	v_cndmask_b32_e64 v7, v53, v0, s[4:5]
	v_cndmask_b32_e32 v0, v56, v52, vcc
	v_cndmask_b32_e64 v17, v17, v0, s[0:1]
	v_cndmask_b32_e64 v11, v11, v17, s[2:3]
	v_alignbit_b32 v52, v8, v11, v51
	v_cndmask_b32_e32 v10, v54, v10, vcc
	v_cndmask_b32_e64 v8, v52, v8, s[4:5]
	v_bfe_u32 v55, v7, 29, 1
	v_cndmask_b32_e64 v0, v0, v10, s[0:1]
	v_alignbit_b32 v52, v7, v8, 30
	v_sub_u32_e32 v56, 0, v55
	v_cndmask_b32_e64 v0, v17, v0, s[2:3]
	v_xor_b32_e32 v57, v52, v56
	v_alignbit_b32 v10, v11, v0, v51
	v_cndmask_b32_e64 v10, v10, v11, s[4:5]
	v_ffbh_u32_e32 v11, v57
	v_add_u32_e32 v11, 1, v11
	v_cmp_ne_u32_e32 vcc, v52, v56
	v_alignbit_b32 v8, v8, v10, 30
	v_cndmask_b32_e32 v11, 33, v11, vcc
	v_alignbit_b32 v0, v10, v0, 30
	v_xor_b32_e32 v8, v8, v56
	v_sub_u32_e32 v17, 32, v11
	v_xor_b32_e32 v0, v0, v56
	v_alignbit_b32 v51, v57, v8, v17
	v_alignbit_b32 v0, v8, v0, v17
	;; [unrolled: 1-line block ×3, first 2 shown]
	v_ffbh_u32_e32 v10, v8
	v_min_u32_e32 v10, 32, v10
	v_lshrrev_b32_e32 v53, 29, v7
	v_sub_u32_e32 v17, 31, v10
	v_alignbit_b32 v0, v8, v0, v17
	v_lshlrev_b32_e32 v8, 31, v53
	v_or_b32_e32 v17, 0x33800000, v8
	v_add_lshl_u32 v10, v10, v11, 23
	v_lshrrev_b32_e32 v0, 9, v0
	v_sub_u32_e32 v10, v17, v10
	v_or_b32_e32 v0, v10, v0
	v_alignbit_b32 v10, v11, v51, 9
	v_or_b32_e32 v8, v10, v8
	v_xor_b32_e32 v8, 1.0, v8
	v_mul_f32_e32 v10, 0x3fc90fda, v8
	v_fma_f32 v11, v8, s41, -v10
	v_fmac_f32_e32 v11, 0x33a22168, v8
	v_fmac_f32_e32 v11, 0x3fc90fda, v0
	v_lshrrev_b32_e32 v7, 30, v7
	v_add_f32_e32 v0, v10, v11
	v_add_u32_e32 v7, v55, v7
.LBB6_34:                               ;   in Loop: Header=BB6_9 Depth=1
	s_andn2_saveexec_b64 s[0:1], s[20:21]
; %bb.35:                               ;   in Loop: Header=BB6_9 Depth=1
	v_mul_f32_e64 v0, |v5|, s42
	v_rndne_f32_e32 v8, v0
	v_cvt_i32_f32_e32 v7, v8
	v_fma_f32 v0, v8, s43, |v5|
	v_fmac_f32_e32 v0, 0xb3a22168, v8
	v_fmac_f32_e32 v0, 0xa7c234c4, v8
; %bb.36:                               ;   in Loop: Header=BB6_9 Depth=1
	s_or_b64 exec, exec, s[0:1]
	v_mul_f32_e32 v51, v0, v0
	v_mov_b32_e32 v10, 0xbf039337
	v_fmac_f32_e32 v10, 0x3c971480, v51
	v_fma_f32 v10, v51, v10, v43
	v_rcp_f32_e32 v52, v10
	v_add_u32_e32 v8, s45, v41
	v_ashrrev_i32_e32 v11, 31, v8
	v_add_co_u32_e32 v10, vcc, s16, v8
	v_mov_b32_e32 v8, 0x3ec54587
	v_fmac_f32_e32 v8, 0xbc8cedd3, v51
	v_mul_f32_e32 v8, v8, v52
	v_mov_b32_e32 v17, s17
	v_mul_f32_e32 v8, v51, v8
	v_addc_co_u32_e32 v11, vcc, v17, v11, vcc
	v_fma_f32 v17, v8, v0, v0
	v_rcp_f32_e32 v51, v17
	v_sub_f32_e32 v52, v17, v0
	v_fma_f32 v0, v8, v0, -v52
	v_and_b32_e32 v7, 1, v7
	v_fma_f32 v8, v17, -v51, 1.0
	v_fma_f32 v0, v0, -v51, v8
	v_fma_f32 v0, v0, -v51, -v51
	v_cmp_eq_u32_e32 vcc, 0, v7
	v_cndmask_b32_e32 v0, v0, v17, vcc
	v_xor_b32_e32 v6, v6, v5
	v_xor_b32_e32 v0, v6, v0
	v_cmp_class_f32_e64 vcc, v5, s44
	v_cndmask_b32_e32 v0, v48, v0, vcc
	v_mov_b32_e32 v5, s13
	v_fma_f32 v0, s14, v0, v5
	global_store_dword v[10:11], v0, off
.LBB6_37:                               ;   in Loop: Header=BB6_9 Depth=1
	s_or_b64 exec, exec, s[18:19]
	v_mov_b32_e32 v0, s29
	v_add_co_u32_e32 v6, vcc, s28, v14
	v_addc_co_u32_e32 v7, vcc, v0, v15, vcc
	v_cmp_gt_i64_e32 vcc, s[8:9], v[6:7]
	s_and_saveexec_b64 s[18:19], vcc
	s_cbranch_execz .LBB6_8
; %bb.38:                               ;   in Loop: Header=BB6_9 Depth=1
	v_cvt_f32_u32_e32 v0, v9
	v_mov_b32_e32 v5, 0x2f800000
                                        ; implicit-def: $vgpr7
	v_fmac_f32_e32 v5, 0x2f800000, v0
	v_cmp_nlt_f32_e32 vcc, s12, v5
	v_cndmask_b32_e32 v0, v44, v5, vcc
	v_cmp_ngt_f32_e32 vcc, s31, v0
	v_cndmask_b32_e32 v0, v45, v0, vcc
	v_add_f32_e32 v0, -0.5, v0
	v_mul_f32_e32 v5, 0x40490fdb, v0
	v_and_b32_e32 v6, 0x7fffffff, v5
	v_cmp_nlt_f32_e64 s[0:1], |v5|, s33
                                        ; implicit-def: $vgpr0
	s_and_saveexec_b64 s[2:3], s[0:1]
	s_xor_b64 s[20:21], exec, s[2:3]
	s_cbranch_execz .LBB6_40
; %bb.39:                               ;   in Loop: Header=BB6_9 Depth=1
	v_lshrrev_b32_e32 v0, 23, v6
	v_add_u32_e32 v0, 0xffffff88, v0
	v_cmp_lt_u32_e32 vcc, 63, v0
	v_cndmask_b32_e32 v7, 0, v46, vcc
	v_add_u32_e32 v0, v7, v0
	v_cmp_lt_u32_e64 s[0:1], 31, v0
	v_cndmask_b32_e64 v7, 0, v47, s[0:1]
	v_add_u32_e32 v0, v7, v0
	v_cmp_lt_u32_e64 s[2:3], 31, v0
	v_cndmask_b32_e64 v7, 0, v47, s[2:3]
	v_add_u32_e32 v7, v7, v0
	v_and_b32_e32 v0, 0x7fffff, v6
	v_or_b32_e32 v17, 0x800000, v0
	v_mad_u64_u32 v[8:9], s[4:5], v17, s34, 0
	v_mov_b32_e32 v0, v9
	v_mad_u64_u32 v[10:11], s[4:5], v17, s35, v[0:1]
	v_mov_b32_e32 v0, v11
	;; [unrolled: 2-line block ×6, first 2 shown]
	v_mad_u64_u32 v[60:61], s[4:5], v17, s40, v[0:1]
	v_cndmask_b32_e32 v9, v58, v54, vcc
	v_cndmask_b32_e32 v0, v60, v56, vcc
	;; [unrolled: 1-line block ×3, first 2 shown]
	v_cndmask_b32_e64 v11, v0, v9, s[0:1]
	v_cndmask_b32_e64 v0, v17, v0, s[0:1]
	v_cndmask_b32_e32 v17, v56, v52, vcc
	v_cndmask_b32_e64 v9, v9, v17, s[0:1]
	v_cndmask_b32_e64 v0, v0, v11, s[2:3]
	;; [unrolled: 1-line block ×3, first 2 shown]
	v_sub_u32_e32 v51, 32, v7
	v_alignbit_b32 v53, v0, v11, v51
	v_cmp_eq_u32_e64 s[4:5], 0, v7
	v_cndmask_b32_e64 v7, v53, v0, s[4:5]
	v_cndmask_b32_e32 v0, v54, v10, vcc
	v_cndmask_b32_e64 v10, v17, v0, s[0:1]
	v_cndmask_b32_e64 v9, v9, v10, s[2:3]
	v_alignbit_b32 v17, v11, v9, v51
	v_cndmask_b32_e64 v11, v17, v11, s[4:5]
	v_bfe_u32 v54, v7, 29, 1
	v_cndmask_b32_e32 v8, v52, v8, vcc
	v_alignbit_b32 v17, v7, v11, 30
	v_sub_u32_e32 v55, 0, v54
	v_cndmask_b32_e64 v0, v0, v8, s[0:1]
	v_xor_b32_e32 v56, v17, v55
	v_cndmask_b32_e64 v0, v10, v0, s[2:3]
	v_alignbit_b32 v8, v9, v0, v51
	v_ffbh_u32_e32 v10, v56
	v_cndmask_b32_e64 v8, v8, v9, s[4:5]
	v_add_u32_e32 v10, 1, v10
	v_cmp_ne_u32_e32 vcc, v17, v55
	v_alignbit_b32 v9, v11, v8, 30
	v_cndmask_b32_e32 v10, 33, v10, vcc
	v_alignbit_b32 v0, v8, v0, 30
	v_xor_b32_e32 v9, v9, v55
	v_sub_u32_e32 v11, 32, v10
	v_xor_b32_e32 v0, v0, v55
	v_alignbit_b32 v17, v56, v9, v11
	v_alignbit_b32 v0, v9, v0, v11
	;; [unrolled: 1-line block ×3, first 2 shown]
	v_ffbh_u32_e32 v9, v8
	v_min_u32_e32 v9, 32, v9
	v_lshrrev_b32_e32 v53, 29, v7
	v_sub_u32_e32 v11, 31, v9
	v_alignbit_b32 v0, v8, v0, v11
	v_lshlrev_b32_e32 v8, 31, v53
	v_or_b32_e32 v11, 0x33800000, v8
	v_add_lshl_u32 v9, v9, v10, 23
	v_lshrrev_b32_e32 v0, 9, v0
	v_sub_u32_e32 v9, v11, v9
	v_or_b32_e32 v0, v9, v0
	v_alignbit_b32 v9, v10, v17, 9
	v_or_b32_e32 v8, v9, v8
	v_xor_b32_e32 v8, 1.0, v8
	v_mul_f32_e32 v9, 0x3fc90fda, v8
	v_fma_f32 v10, v8, s41, -v9
	v_fmac_f32_e32 v10, 0x33a22168, v8
	v_fmac_f32_e32 v10, 0x3fc90fda, v0
	v_lshrrev_b32_e32 v7, 30, v7
	v_add_f32_e32 v0, v9, v10
	v_add_u32_e32 v7, v54, v7
.LBB6_40:                               ;   in Loop: Header=BB6_9 Depth=1
	s_andn2_saveexec_b64 s[0:1], s[20:21]
	s_cbranch_execz .LBB6_7
; %bb.41:                               ;   in Loop: Header=BB6_9 Depth=1
	v_mul_f32_e64 v0, |v5|, s42
	v_rndne_f32_e32 v8, v0
	v_cvt_i32_f32_e32 v7, v8
	v_fma_f32 v0, v8, s43, |v5|
	v_fmac_f32_e32 v0, 0xb3a22168, v8
	v_fmac_f32_e32 v0, 0xa7c234c4, v8
	s_branch .LBB6_7
.LBB6_42:
	s_endpgm
.LBB6_43:
                                        ; implicit-def: $sgpr2_sgpr3
	s_andn2_b64 vcc, exec, s[0:1]
	s_cbranch_vccz .LBB6_4
	s_branch .LBB6_5
	.section	.rodata,"a",@progbits
	.p2align	6, 0x0
	.amdhsa_kernel _ZN2at6native12_GLOBAL__N_143distribution_elementwise_grid_stride_kernelIfLi4EZNS0_9templates4cuda21uniform_and_transformIffPNS_17CUDAGeneratorImplEZZZNS4_13cauchy_kernelIS7_EEvRNS_18TensorIteratorBaseEddT_ENKUlvE_clEvENKUlvE0_clEvEUlfE_EEvSA_T1_T2_EUlP25hiprandStatePhilox4_32_10E0_ZNS1_27distribution_nullary_kernelIff15HIP_vector_typeIfLj4EES7_SJ_SE_EEvSA_SG_RKT3_T4_EUlifE_EEvlNS_15PhiloxCudaStateESF_SG_
		.amdhsa_group_segment_fixed_size 0
		.amdhsa_private_segment_fixed_size 0
		.amdhsa_kernarg_size 328
		.amdhsa_user_sgpr_count 6
		.amdhsa_user_sgpr_private_segment_buffer 1
		.amdhsa_user_sgpr_dispatch_ptr 0
		.amdhsa_user_sgpr_queue_ptr 0
		.amdhsa_user_sgpr_kernarg_segment_ptr 1
		.amdhsa_user_sgpr_dispatch_id 0
		.amdhsa_user_sgpr_flat_scratch_init 0
		.amdhsa_user_sgpr_kernarg_preload_length 0
		.amdhsa_user_sgpr_kernarg_preload_offset 0
		.amdhsa_user_sgpr_private_segment_size 0
		.amdhsa_uses_dynamic_stack 0
		.amdhsa_system_sgpr_private_segment_wavefront_offset 0
		.amdhsa_system_sgpr_workgroup_id_x 1
		.amdhsa_system_sgpr_workgroup_id_y 0
		.amdhsa_system_sgpr_workgroup_id_z 0
		.amdhsa_system_sgpr_workgroup_info 0
		.amdhsa_system_vgpr_workitem_id 0
		.amdhsa_next_free_vgpr 64
		.amdhsa_next_free_sgpr 46
		.amdhsa_accum_offset 64
		.amdhsa_reserve_vcc 1
		.amdhsa_reserve_flat_scratch 0
		.amdhsa_float_round_mode_32 0
		.amdhsa_float_round_mode_16_64 0
		.amdhsa_float_denorm_mode_32 3
		.amdhsa_float_denorm_mode_16_64 3
		.amdhsa_dx10_clamp 1
		.amdhsa_ieee_mode 1
		.amdhsa_fp16_overflow 0
		.amdhsa_tg_split 0
		.amdhsa_exception_fp_ieee_invalid_op 0
		.amdhsa_exception_fp_denorm_src 0
		.amdhsa_exception_fp_ieee_div_zero 0
		.amdhsa_exception_fp_ieee_overflow 0
		.amdhsa_exception_fp_ieee_underflow 0
		.amdhsa_exception_fp_ieee_inexact 0
		.amdhsa_exception_int_div_zero 0
	.end_amdhsa_kernel
	.section	.text._ZN2at6native12_GLOBAL__N_143distribution_elementwise_grid_stride_kernelIfLi4EZNS0_9templates4cuda21uniform_and_transformIffPNS_17CUDAGeneratorImplEZZZNS4_13cauchy_kernelIS7_EEvRNS_18TensorIteratorBaseEddT_ENKUlvE_clEvENKUlvE0_clEvEUlfE_EEvSA_T1_T2_EUlP25hiprandStatePhilox4_32_10E0_ZNS1_27distribution_nullary_kernelIff15HIP_vector_typeIfLj4EES7_SJ_SE_EEvSA_SG_RKT3_T4_EUlifE_EEvlNS_15PhiloxCudaStateESF_SG_,"axG",@progbits,_ZN2at6native12_GLOBAL__N_143distribution_elementwise_grid_stride_kernelIfLi4EZNS0_9templates4cuda21uniform_and_transformIffPNS_17CUDAGeneratorImplEZZZNS4_13cauchy_kernelIS7_EEvRNS_18TensorIteratorBaseEddT_ENKUlvE_clEvENKUlvE0_clEvEUlfE_EEvSA_T1_T2_EUlP25hiprandStatePhilox4_32_10E0_ZNS1_27distribution_nullary_kernelIff15HIP_vector_typeIfLj4EES7_SJ_SE_EEvSA_SG_RKT3_T4_EUlifE_EEvlNS_15PhiloxCudaStateESF_SG_,comdat
.Lfunc_end6:
	.size	_ZN2at6native12_GLOBAL__N_143distribution_elementwise_grid_stride_kernelIfLi4EZNS0_9templates4cuda21uniform_and_transformIffPNS_17CUDAGeneratorImplEZZZNS4_13cauchy_kernelIS7_EEvRNS_18TensorIteratorBaseEddT_ENKUlvE_clEvENKUlvE0_clEvEUlfE_EEvSA_T1_T2_EUlP25hiprandStatePhilox4_32_10E0_ZNS1_27distribution_nullary_kernelIff15HIP_vector_typeIfLj4EES7_SJ_SE_EEvSA_SG_RKT3_T4_EUlifE_EEvlNS_15PhiloxCudaStateESF_SG_, .Lfunc_end6-_ZN2at6native12_GLOBAL__N_143distribution_elementwise_grid_stride_kernelIfLi4EZNS0_9templates4cuda21uniform_and_transformIffPNS_17CUDAGeneratorImplEZZZNS4_13cauchy_kernelIS7_EEvRNS_18TensorIteratorBaseEddT_ENKUlvE_clEvENKUlvE0_clEvEUlfE_EEvSA_T1_T2_EUlP25hiprandStatePhilox4_32_10E0_ZNS1_27distribution_nullary_kernelIff15HIP_vector_typeIfLj4EES7_SJ_SE_EEvSA_SG_RKT3_T4_EUlifE_EEvlNS_15PhiloxCudaStateESF_SG_
                                        ; -- End function
	.section	.AMDGPU.csdata,"",@progbits
; Kernel info:
; codeLenInByte = 5660
; NumSgprs: 50
; NumVgprs: 64
; NumAgprs: 0
; TotalNumVgprs: 64
; ScratchSize: 0
; MemoryBound: 0
; FloatMode: 240
; IeeeMode: 1
; LDSByteSize: 0 bytes/workgroup (compile time only)
; SGPRBlocks: 6
; VGPRBlocks: 7
; NumSGPRsForWavesPerEU: 50
; NumVGPRsForWavesPerEU: 64
; AccumOffset: 64
; Occupancy: 8
; WaveLimiterHint : 0
; COMPUTE_PGM_RSRC2:SCRATCH_EN: 0
; COMPUTE_PGM_RSRC2:USER_SGPR: 6
; COMPUTE_PGM_RSRC2:TRAP_HANDLER: 0
; COMPUTE_PGM_RSRC2:TGID_X_EN: 1
; COMPUTE_PGM_RSRC2:TGID_Y_EN: 0
; COMPUTE_PGM_RSRC2:TGID_Z_EN: 0
; COMPUTE_PGM_RSRC2:TIDIG_COMP_CNT: 0
; COMPUTE_PGM_RSRC3_GFX90A:ACCUM_OFFSET: 15
; COMPUTE_PGM_RSRC3_GFX90A:TG_SPLIT: 0
	.section	.text._ZN2at6native12_GLOBAL__N_143distribution_elementwise_grid_stride_kernelIfLi4EZNS0_9templates4cuda21uniform_and_transformIffPNS_17CUDAGeneratorImplEZZZNS4_13cauchy_kernelIS7_EEvRNS_18TensorIteratorBaseEddT_ENKUlvE_clEvENKUlvE0_clEvEUlfE_EEvSA_T1_T2_EUlP25hiprandStatePhilox4_32_10E0_ZNS1_27distribution_nullary_kernelIff15HIP_vector_typeIfLj4EES7_SJ_SE_EEvSA_SG_RKT3_T4_EUlifE0_EEvlNS_15PhiloxCudaStateESF_SG_,"axG",@progbits,_ZN2at6native12_GLOBAL__N_143distribution_elementwise_grid_stride_kernelIfLi4EZNS0_9templates4cuda21uniform_and_transformIffPNS_17CUDAGeneratorImplEZZZNS4_13cauchy_kernelIS7_EEvRNS_18TensorIteratorBaseEddT_ENKUlvE_clEvENKUlvE0_clEvEUlfE_EEvSA_T1_T2_EUlP25hiprandStatePhilox4_32_10E0_ZNS1_27distribution_nullary_kernelIff15HIP_vector_typeIfLj4EES7_SJ_SE_EEvSA_SG_RKT3_T4_EUlifE0_EEvlNS_15PhiloxCudaStateESF_SG_,comdat
	.globl	_ZN2at6native12_GLOBAL__N_143distribution_elementwise_grid_stride_kernelIfLi4EZNS0_9templates4cuda21uniform_and_transformIffPNS_17CUDAGeneratorImplEZZZNS4_13cauchy_kernelIS7_EEvRNS_18TensorIteratorBaseEddT_ENKUlvE_clEvENKUlvE0_clEvEUlfE_EEvSA_T1_T2_EUlP25hiprandStatePhilox4_32_10E0_ZNS1_27distribution_nullary_kernelIff15HIP_vector_typeIfLj4EES7_SJ_SE_EEvSA_SG_RKT3_T4_EUlifE0_EEvlNS_15PhiloxCudaStateESF_SG_ ; -- Begin function _ZN2at6native12_GLOBAL__N_143distribution_elementwise_grid_stride_kernelIfLi4EZNS0_9templates4cuda21uniform_and_transformIffPNS_17CUDAGeneratorImplEZZZNS4_13cauchy_kernelIS7_EEvRNS_18TensorIteratorBaseEddT_ENKUlvE_clEvENKUlvE0_clEvEUlfE_EEvSA_T1_T2_EUlP25hiprandStatePhilox4_32_10E0_ZNS1_27distribution_nullary_kernelIff15HIP_vector_typeIfLj4EES7_SJ_SE_EEvSA_SG_RKT3_T4_EUlifE0_EEvlNS_15PhiloxCudaStateESF_SG_
	.p2align	8
	.type	_ZN2at6native12_GLOBAL__N_143distribution_elementwise_grid_stride_kernelIfLi4EZNS0_9templates4cuda21uniform_and_transformIffPNS_17CUDAGeneratorImplEZZZNS4_13cauchy_kernelIS7_EEvRNS_18TensorIteratorBaseEddT_ENKUlvE_clEvENKUlvE0_clEvEUlfE_EEvSA_T1_T2_EUlP25hiprandStatePhilox4_32_10E0_ZNS1_27distribution_nullary_kernelIff15HIP_vector_typeIfLj4EES7_SJ_SE_EEvSA_SG_RKT3_T4_EUlifE0_EEvlNS_15PhiloxCudaStateESF_SG_,@function
_ZN2at6native12_GLOBAL__N_143distribution_elementwise_grid_stride_kernelIfLi4EZNS0_9templates4cuda21uniform_and_transformIffPNS_17CUDAGeneratorImplEZZZNS4_13cauchy_kernelIS7_EEvRNS_18TensorIteratorBaseEddT_ENKUlvE_clEvENKUlvE0_clEvEUlfE_EEvSA_T1_T2_EUlP25hiprandStatePhilox4_32_10E0_ZNS1_27distribution_nullary_kernelIff15HIP_vector_typeIfLj4EES7_SJ_SE_EEvSA_SG_RKT3_T4_EUlifE0_EEvlNS_15PhiloxCudaStateESF_SG_: ; @_ZN2at6native12_GLOBAL__N_143distribution_elementwise_grid_stride_kernelIfLi4EZNS0_9templates4cuda21uniform_and_transformIffPNS_17CUDAGeneratorImplEZZZNS4_13cauchy_kernelIS7_EEvRNS_18TensorIteratorBaseEddT_ENKUlvE_clEvENKUlvE0_clEvEUlfE_EEvSA_T1_T2_EUlP25hiprandStatePhilox4_32_10E0_ZNS1_27distribution_nullary_kernelIff15HIP_vector_typeIfLj4EES7_SJ_SE_EEvSA_SG_RKT3_T4_EUlifE0_EEvlNS_15PhiloxCudaStateESF_SG_
; %bb.0:
	s_load_dword s2, s[4:5], 0x20
	s_load_dwordx2 s[0:1], s[4:5], 0x10
	s_load_dwordx4 s[24:27], s[4:5], 0x0
	s_waitcnt lgkmcnt(0)
	s_bitcmp0_b32 s2, 0
	s_mov_b32 s2, 0
	v_pk_mov_b32 v[2:3], s[0:1], s[0:1] op_sel:[0,1]
	v_pk_mov_b32 v[12:13], s[26:27], s[26:27] op_sel:[0,1]
	s_cbranch_scc1 .LBB7_2
; %bb.1:
	v_pk_mov_b32 v[2:3], s[0:1], s[0:1] op_sel:[0,1]
	flat_load_dwordx2 v[2:3], v[2:3]
	v_pk_mov_b32 v[4:5], s[26:27], s[26:27] op_sel:[0,1]
	flat_load_dwordx2 v[12:13], v[4:5]
	s_load_dwordx2 s[0:1], s[4:5], 0x18
	s_waitcnt lgkmcnt(0)
	v_mov_b32_e32 v1, s1
	s_waitcnt vmcnt(0)
	v_add_co_u32_e32 v2, vcc, s0, v2
	v_addc_co_u32_e32 v3, vcc, v3, v1, vcc
.LBB7_2:
	s_load_dword s0, s[4:5], 0x154
	s_load_dword s7, s[4:5], 0x148
	s_waitcnt lgkmcnt(0)
	s_and_b32 s8, s0, 0xffff
	s_add_u32 s9, s24, -1
	s_mul_i32 s33, s7, s8
	s_addc_u32 s3, s25, -1
	s_lshl_b32 s60, s33, 2
	s_cmp_lg_u64 s[2:3], 0
	s_mov_b64 s[0:1], -1
	s_cbranch_scc0 .LBB7_99
; %bb.3:
	v_cvt_f32_u32_e32 v1, s60
	v_cvt_f32_ubyte0_e32 v4, 0
	s_sub_u32 s2, 0, s60
	s_subb_u32 s10, 0, 0
	v_madmk_f32 v1, v4, 0x4f800000, v1
	v_rcp_f32_e32 v1, v1
	v_mul_f32_e32 v1, 0x5f7ffffc, v1
	v_mul_f32_e32 v4, 0x2f800000, v1
	v_trunc_f32_e32 v4, v4
	v_madmk_f32 v1, v4, 0xcf800000, v1
	v_cvt_u32_f32_e32 v4, v4
	v_cvt_u32_f32_e32 v1, v1
	v_readfirstlane_b32 s11, v4
	v_readfirstlane_b32 s12, v1
	s_mul_i32 s13, s2, s11
	s_mul_hi_u32 s15, s2, s12
	s_mul_i32 s14, s10, s12
	s_add_i32 s13, s15, s13
	s_add_i32 s13, s13, s14
	s_mul_i32 s16, s2, s12
	s_mul_hi_u32 s14, s12, s13
	s_mul_i32 s15, s12, s13
	s_mul_hi_u32 s12, s12, s16
	s_add_u32 s12, s12, s15
	s_addc_u32 s14, 0, s14
	s_mul_hi_u32 s17, s11, s16
	s_mul_i32 s16, s11, s16
	s_add_u32 s12, s12, s16
	s_mul_hi_u32 s15, s11, s13
	s_addc_u32 s12, s14, s17
	s_addc_u32 s14, s15, 0
	s_mul_i32 s13, s11, s13
	s_add_u32 s12, s12, s13
	s_addc_u32 s13, 0, s14
	v_add_co_u32_e32 v1, vcc, s12, v1
	s_cmp_lg_u64 vcc, 0
	s_addc_u32 s11, s11, s13
	v_readfirstlane_b32 s13, v1
	s_mul_i32 s12, s2, s11
	s_mul_hi_u32 s14, s2, s13
	s_add_i32 s12, s14, s12
	s_mul_i32 s10, s10, s13
	s_add_i32 s12, s12, s10
	s_mul_i32 s2, s2, s13
	s_mul_hi_u32 s14, s11, s2
	s_mul_i32 s15, s11, s2
	s_mul_i32 s17, s13, s12
	s_mul_hi_u32 s2, s13, s2
	s_mul_hi_u32 s16, s13, s12
	s_add_u32 s2, s2, s17
	s_addc_u32 s13, 0, s16
	s_add_u32 s2, s2, s15
	s_mul_hi_u32 s10, s11, s12
	s_addc_u32 s2, s13, s14
	s_addc_u32 s10, s10, 0
	s_mul_i32 s12, s11, s12
	s_add_u32 s2, s2, s12
	s_addc_u32 s10, 0, s10
	v_add_co_u32_e32 v1, vcc, s2, v1
	s_cmp_lg_u64 vcc, 0
	s_addc_u32 s12, s11, s10
	s_ashr_i32 s10, s3, 31
	s_add_u32 s2, s9, s10
	s_mov_b32 s11, s10
	s_addc_u32 s3, s3, s10
	s_xor_b64 s[2:3], s[2:3], s[10:11]
	v_readfirstlane_b32 s15, v1
	s_mul_i32 s14, s2, s12
	s_mul_hi_u32 s16, s2, s15
	s_mul_hi_u32 s13, s2, s12
	s_add_u32 s14, s16, s14
	s_addc_u32 s13, 0, s13
	s_mul_hi_u32 s17, s3, s15
	s_mul_i32 s15, s3, s15
	s_add_u32 s14, s14, s15
	s_mul_hi_u32 s16, s3, s12
	s_addc_u32 s13, s13, s17
	s_addc_u32 s14, s16, 0
	s_mul_i32 s12, s3, s12
	s_add_u32 s12, s13, s12
	s_addc_u32 s13, 0, s14
	s_add_u32 s14, s12, 1
	s_addc_u32 s15, s13, 0
	s_add_u32 s16, s12, 2
	s_mul_i32 s18, s60, s13
	s_mul_hi_u32 s19, s60, s12
	s_addc_u32 s17, s13, 0
	s_add_i32 s19, s19, s18
	s_mul_i32 s18, s60, s12
	v_mov_b32_e32 v1, s18
	v_sub_co_u32_e32 v1, vcc, s2, v1
	s_cmp_lg_u64 vcc, 0
	s_subb_u32 s2, s3, s19
	v_subrev_co_u32_e32 v4, vcc, s60, v1
	s_cmp_lg_u64 vcc, 0
	s_subb_u32 s3, s2, 0
	v_readfirstlane_b32 s18, v4
	s_cmp_ge_u32 s18, s60
	s_cselect_b32 s18, -1, 0
	s_cmp_eq_u32 s3, 0
	s_cselect_b32 s3, s18, -1
	s_cmp_lg_u32 s3, 0
	s_cselect_b32 s3, s17, s15
	v_readfirstlane_b32 s15, v1
	s_cselect_b32 s14, s16, s14
	s_cmp_ge_u32 s15, s60
	s_cselect_b32 s15, -1, 0
	s_cmp_eq_u32 s2, 0
	s_cselect_b32 s2, s15, -1
	s_cmp_lg_u32 s2, 0
	s_cselect_b32 s3, s3, s13
	s_cselect_b32 s2, s14, s12
	s_xor_b64 s[2:3], s[2:3], s[10:11]
	s_sub_u32 s2, s2, s10
	s_subb_u32 s3, s3, s10
	s_cbranch_execnz .LBB7_5
.LBB7_4:
	v_cvt_f32_u32_e32 v1, s60
	s_sub_i32 s0, 0, s60
	s_mov_b32 s3, 0
	v_rcp_iflag_f32_e32 v1, v1
	v_mul_f32_e32 v1, 0x4f7ffffe, v1
	v_cvt_u32_f32_e32 v1, v1
	v_readfirstlane_b32 s1, v1
	s_mul_i32 s0, s0, s1
	s_mul_hi_u32 s0, s1, s0
	s_add_i32 s1, s1, s0
	s_mul_hi_u32 s0, s9, s1
	s_mul_i32 s2, s0, s60
	s_sub_i32 s2, s9, s2
	s_add_i32 s1, s0, 1
	s_sub_i32 s9, s2, s60
	s_cmp_ge_u32 s2, s60
	s_cselect_b32 s0, s1, s0
	s_cselect_b32 s2, s9, s2
	s_add_i32 s1, s0, 1
	s_cmp_ge_u32 s2, s60
	s_cselect_b32 s2, s1, s0
.LBB7_5:
	v_mov_b32_e32 v1, 0
	v_mov_b32_e32 v4, s6
	v_mad_u64_u32 v[14:15], s[0:1], s8, v4, v[0:1]
	s_add_u32 s0, s2, 1
	s_addc_u32 s1, s3, 0
	s_mul_hi_u32 s2, s7, s8
	s_mul_i32 s1, s33, s1
	s_mul_hi_u32 s3, s33, s0
	s_add_i32 s1, s3, s1
	s_mul_i32 s2, s2, s0
	s_add_i32 s1, s1, s2
	s_mul_i32 s0, s33, s0
	s_lshl_b64 s[26:27], s[0:1], 2
	v_cmp_gt_i64_e32 vcc, s[26:27], v[14:15]
	s_and_saveexec_b64 s[0:1], vcc
	s_cbranch_execz .LBB7_98
; %bb.6:
	s_mov_b32 s0, 0x5384540f
	v_mov_b32_e32 v0, v13
	v_add_co_u32_e32 v24, vcc, s0, v12
	s_mov_b32 s0, 0x646e171e
	v_add_co_u32_e32 v25, vcc, s0, v0
	s_mov_b32 s0, 0x1715609d
	;; [unrolled: 2-line block ×6, first 2 shown]
	v_alignbit_b32 v31, v3, v2, 2
	s_mov_b32 s62, 0xd2511f53
	v_add_co_u32_e32 v30, vcc, s0, v12
	v_mad_u64_u32 v[4:5], s[0:1], v31, s62, 0
	v_and_b32_e32 v20, 3, v2
	v_xor_b32_e32 v2, v5, v13
	v_xor_b32_e32 v2, v2, v15
	s_mov_b32 s63, 0xcd9e8d57
	v_mad_u64_u32 v[6:7], s[0:1], v2, s63, 0
	v_xor_b32_e32 v2, v30, v7
	v_mad_u64_u32 v[8:9], s[0:1], v14, s63, 0
	v_xor_b32_e32 v2, v2, v8
	;; [unrolled: 2-line block ×3, first 2 shown]
	v_lshrrev_b32_e32 v32, 2, v3
	v_xor_b32_e32 v2, v2, v32
	v_xor_b32_e32 v5, v29, v11
	v_mad_u64_u32 v[2:3], s[0:1], v2, s62, 0
	v_xor_b32_e32 v2, v5, v2
	v_mad_u64_u32 v[8:9], s[0:1], v2, s63, 0
	s_mov_b32 s0, 0xbb67ae85
	v_add_co_u32_e32 v33, vcc, s0, v0
	v_xor_b32_e32 v2, v33, v3
	v_xor_b32_e32 v2, v2, v4
	v_xor_b32_e32 v5, v28, v9
	v_mad_u64_u32 v[2:3], s[0:1], v2, s63, 0
	v_xor_b32_e32 v2, v5, v2
	v_mad_u64_u32 v[4:5], s[0:1], v2, s62, 0
	s_mov_b32 s0, 0x3c6ef372
	v_add_co_u32_e32 v34, vcc, s0, v12
	v_xor_b32_e32 v2, v34, v3
	;; [unrolled: 8-line block ×6, first 2 shown]
	v_add_co_u32_e32 v23, vcc, 0xdb3d7428, v0
	v_xor_b32_e32 v2, v2, v6
	v_xor_b32_e32 v5, v23, v5
	v_mad_u64_u32 v[2:3], s[0:1], v2, s62, 0
	v_xor_b32_e32 v2, v5, v2
	v_mad_u64_u32 v[16:17], s[0:1], v2, s63, 0
	s_mov_b32 s0, 0x1fd5c5a3
	v_add_co_u32_e32 v39, vcc, s0, v0
	v_xor_b32_e32 v0, v39, v3
	v_xor_b32_e32 v0, v0, v10
	v_mad_u64_u32 v[2:3], s[0:1], v0, s63, 0
	s_mov_b32 s0, 0xf1bbcdc8
	s_load_dwordx8 s[8:15], s[4:5], 0x30
	v_add_u32_e32 v21, 0x8ff34781, v12
	v_xor_b32_e32 v0, v17, v2
	v_add_co_u32_e32 v40, vcc, s0, v12
	v_xor_b32_e32 v6, v21, v0
	v_xor_b32_e32 v0, v40, v3
	;; [unrolled: 1-line block ×3, first 2 shown]
	s_add_u32 s34, s4, 48
	v_mad_u64_u32 v[2:3], s[0:1], v0, s62, 0
	s_addc_u32 s35, s5, 0
	s_waitcnt lgkmcnt(0)
	s_add_i32 s0, s8, -1
	s_cmp_gt_u32 s0, 1
	s_cselect_b64 s[40:41], -1, 0
	s_cmp_lg_u32 s8, 0
	s_cselect_b64 s[42:43], -1, 0
	s_add_u32 s44, s4, 0xf4
	s_addc_u32 s45, s5, 0
	s_min_u32 s1, s0, 15
	s_cmp_gt_u32 s8, 1
	s_cselect_b64 s[46:47], -1, 0
	s_add_i32 s1, s1, 1
	s_mov_b32 s8, s13
	s_load_dwordx2 s[48:49], s[4:5], 0xf4
	s_load_dwordx4 s[28:31], s[4:5], 0x138
	s_lshl_b32 s13, s33, 1
	s_and_b32 s66, s1, 3
	s_cmp_lg_u32 s0, 2
	s_cselect_b64 s[50:51], -1, 0
	s_and_b32 s67, s1, 28
	s_mov_b32 s61, 0
	v_add_u32_e32 v22, 0x96a522ad, v13
	v_xor_b32_e32 v0, v3, v4
	s_cmp_lg_u32 s66, 0
	v_xor_b32_e32 v8, v22, v0
	v_mov_b32_e32 v7, v16
	v_mov_b32_e32 v9, v2
	s_mov_b32 s15, s61
	s_mul_i32 s64, s33, 3
	s_mov_b32 s65, s61
	s_mov_b64 s[52:53], 0
	s_cselect_b64 s[54:55], -1, 0
	s_mov_b32 s68, 0x3f7ffffe
	s_brev_b32 s69, 44
	s_brev_b32 s70, 18
	s_mov_b32 s71, 0xfe5163ab
	s_mov_b32 s72, 0x3c439041
	;; [unrolled: 1-line block ×10, first 2 shown]
	v_mov_b32_e32 v41, 0x3f93f425
	s_movk_i32 s81, 0x1f8
	v_mov_b32_e32 v42, 0x3f7ffffe
	v_bfrev_b32_e32 v43, 44
	v_not_b32_e32 v44, 63
	v_not_b32_e32 v45, 31
	v_mov_b32_e32 v46, 0x7fc00000
	v_mov_b32_e32 v47, v14
	;; [unrolled: 1-line block ×3, first 2 shown]
	s_branch .LBB7_9
.LBB7_7:                                ;   in Loop: Header=BB7_9 Depth=1
	s_or_b64 exec, exec, s[0:1]
	v_mul_f32_e32 v9, v0, v0
	v_mov_b32_e32 v10, 0xbf039337
	v_fmac_f32_e32 v10, 0x3c971480, v9
	v_fma_f32 v10, v9, v10, v41
	v_rcp_f32_e32 v10, v10
	v_mov_b32_e32 v11, 0x3ec54587
	v_fmac_f32_e32 v11, 0xbc8cedd3, v9
	v_and_b32_e32 v8, 1, v8
	v_mul_f32_e32 v10, v11, v10
	v_mul_f32_e32 v9, v9, v10
	v_fma_f32 v10, v9, v0, v0
	v_rcp_f32_e32 v11, v10
	v_sub_f32_e32 v17, v10, v0
	v_fma_f32 v0, v9, v0, -v17
	v_cmp_eq_u32_e32 vcc, 0, v8
	v_fma_f32 v9, v10, -v11, 1.0
	v_fma_f32 v0, v0, -v11, v9
	v_fma_f32 v0, v0, -v11, -v11
	v_cndmask_b32_e32 v0, v0, v10, vcc
	v_xor_b32_e32 v7, v7, v5
	v_xor_b32_e32 v0, v7, v0
	v_cmp_class_f32_e64 vcc, v5, s81
	v_cndmask_b32_e32 v0, v46, v0, vcc
	s_waitcnt lgkmcnt(0)
	v_mov_b32_e32 v5, s30
	v_fma_f32 v0, s31, v0, v5
	global_store_dword v6, v0, s[28:29]
.LBB7_8:                                ;   in Loop: Header=BB7_9 Depth=1
	s_or_b64 exec, exec, s[36:37]
	v_add_co_u32_e32 v14, vcc, s60, v14
	v_mov_b32_e32 v5, v16
	v_addc_co_u32_e32 v15, vcc, 0, v15, vcc
	v_cmp_le_i64_e32 vcc, s[26:27], v[14:15]
	v_pk_mov_b32 v[8:9], v[4:5], v[4:5] op_sel:[0,1]
	s_or_b64 s[52:53], vcc, s[52:53]
	v_pk_mov_b32 v[6:7], v[2:3], v[2:3] op_sel:[0,1]
	s_waitcnt lgkmcnt(0)
	s_barrier
	s_andn2_b64 exec, exec, s[52:53]
	s_cbranch_execz .LBB7_98
.LBB7_9:                                ; =>This Loop Header: Depth=1
                                        ;     Child Loop BB7_24 Depth 2
                                        ;     Child Loop BB7_30 Depth 2
	;; [unrolled: 1-line block ×8, first 2 shown]
	v_add_co_u32_e32 v31, vcc, 1, v31
	v_cndmask_b32_e64 v0, 0, 1, vcc
	v_addc_co_u32_e32 v32, vcc, 0, v32, vcc
	v_cmp_eq_u32_e32 vcc, 0, v32
	v_cndmask_b32_e32 v0, 0, v0, vcc
	v_add_u32_e32 v47, v0, v47
	v_cmp_eq_u32_e32 vcc, 0, v47
	v_cndmask_b32_e32 v0, 0, v0, vcc
	v_mad_u64_u32 v[2:3], s[0:1], v31, s62, 0
	v_mad_u64_u32 v[4:5], s[0:1], v47, s63, 0
	v_add_u32_e32 v48, v0, v48
	v_xor_b32_e32 v0, v5, v12
	v_xor_b32_e32 v3, v3, v13
	v_xor_b32_e32 v0, v32, v0
	v_xor_b32_e32 v3, v48, v3
	v_mad_u64_u32 v[10:11], s[0:1], v0, s62, 0
	v_mad_u64_u32 v[16:17], s[0:1], v3, s63, 0
	v_xor_b32_e32 v0, v30, v17
	v_xor_b32_e32 v3, v33, v11
	v_xor_b32_e32 v0, v0, v4
	v_xor_b32_e32 v4, v3, v2
	v_mad_u64_u32 v[2:3], s[0:1], v0, s62, 0
	v_mad_u64_u32 v[4:5], s[0:1], v4, s63, 0
	;; [unrolled: 6-line block ×9, first 2 shown]
	v_xor_b32_e32 v0, v11, v2
	v_xor_b32_e32 v2, v21, v0
	;; [unrolled: 1-line block ×4, first 2 shown]
	v_mov_b32_e32 v3, v10
	v_mov_b32_e32 v4, v11
	v_cmp_lt_i32_e32 vcc, 1, v20
	s_and_saveexec_b64 s[0:1], vcc
	s_xor_b64 s[0:1], exec, s[0:1]
	s_cbranch_execz .LBB7_15
; %bb.10:                               ;   in Loop: Header=BB7_9 Depth=1
	v_cmp_lt_i32_e32 vcc, 2, v20
	s_and_saveexec_b64 s[2:3], vcc
	s_xor_b64 s[2:3], exec, s[2:3]
; %bb.11:                               ;   in Loop: Header=BB7_9 Depth=1
	v_mov_b32_e32 v8, v9
	v_mov_b32_e32 v9, v2
	v_pk_mov_b32 v[6:7], v[8:9], v[8:9] op_sel:[0,1]
	v_pk_mov_b32 v[8:9], v[10:11], v[10:11] op_sel:[0,1]
                                        ; implicit-def: $vgpr10_vgpr11
; %bb.12:                               ;   in Loop: Header=BB7_9 Depth=1
	s_andn2_saveexec_b64 s[2:3], s[2:3]
; %bb.13:                               ;   in Loop: Header=BB7_9 Depth=1
	v_mov_b32_e32 v6, v8
	v_mov_b32_e32 v7, v9
	;; [unrolled: 1-line block ×4, first 2 shown]
; %bb.14:                               ;   in Loop: Header=BB7_9 Depth=1
	s_or_b64 exec, exec, s[2:3]
.LBB7_15:                               ;   in Loop: Header=BB7_9 Depth=1
	s_andn2_saveexec_b64 s[0:1], s[0:1]
	s_cbranch_execz .LBB7_19
; %bb.16:                               ;   in Loop: Header=BB7_9 Depth=1
	v_cmp_eq_u32_e32 vcc, 1, v20
	s_and_saveexec_b64 s[2:3], vcc
; %bb.17:                               ;   in Loop: Header=BB7_9 Depth=1
	v_mov_b32_e32 v6, v7
	v_mov_b32_e32 v7, v8
	;; [unrolled: 1-line block ×4, first 2 shown]
; %bb.18:                               ;   in Loop: Header=BB7_9 Depth=1
	s_or_b64 exec, exec, s[2:3]
.LBB7_19:                               ;   in Loop: Header=BB7_9 Depth=1
	s_or_b64 exec, exec, s[0:1]
	v_cndmask_b32_e64 v0, 0, 1, s[40:41]
	v_cmp_gt_i64_e32 vcc, s[24:25], v[14:15]
	v_cmp_ne_u32_e64 s[0:1], 1, v0
	s_and_saveexec_b64 s[56:57], vcc
	s_cbranch_execz .LBB7_39
; %bb.20:                               ;   in Loop: Header=BB7_9 Depth=1
	s_and_b64 vcc, exec, s[0:1]
	s_cbranch_vccnz .LBB7_26
; %bb.21:                               ;   in Loop: Header=BB7_9 Depth=1
	s_andn2_b64 vcc, exec, s[42:43]
	s_cbranch_vccnz .LBB7_27
; %bb.22:                               ;   in Loop: Header=BB7_9 Depth=1
	s_mov_b32 s4, 0
	s_andn2_b64 vcc, exec, s[50:51]
	v_mov_b32_e32 v10, 0
	s_cbranch_vccnz .LBB7_28
; %bb.23:                               ;   in Loop: Header=BB7_9 Depth=1
	s_mov_b32 s82, 0
	v_mov_b32_e32 v10, 0
	s_mov_b64 s[2:3], s[34:35]
	s_mov_b64 s[58:59], s[44:45]
	v_mov_b32_e32 v0, v14
.LBB7_24:                               ;   Parent Loop BB7_9 Depth=1
                                        ; =>  This Inner Loop Header: Depth=2
	s_load_dwordx8 s[16:23], s[2:3], 0x4
	s_load_dwordx4 s[4:7], s[2:3], 0x24
	s_load_dwordx4 s[36:39], s[58:59], 0x0
	s_add_u32 s2, s2, 48
	s_addc_u32 s3, s3, 0
	s_waitcnt lgkmcnt(0)
	v_mul_hi_u32 v5, s17, v0
	v_add_u32_e32 v5, v0, v5
	v_lshrrev_b32_e32 v5, s18, v5
	v_mul_lo_u32 v11, v5, s16
	v_mul_hi_u32 v17, s20, v5
	v_sub_u32_e32 v0, v0, v11
	v_add_u32_e32 v11, v5, v17
	v_lshrrev_b32_e32 v11, s21, v11
	v_mul_lo_u32 v17, v11, s19
	v_mul_hi_u32 v18, s23, v11
	v_sub_u32_e32 v5, v5, v17
	v_add_u32_e32 v17, v11, v18
	v_mul_lo_u32 v0, v0, s36
	v_mul_lo_u32 v5, v5, s37
	v_lshrrev_b32_e32 v17, s4, v17
	v_add3_u32 v5, v0, v10, v5
	v_mul_lo_u32 v0, v17, s22
	v_mul_hi_u32 v10, s6, v17
	v_sub_u32_e32 v0, v11, v0
	v_add_u32_e32 v10, v17, v10
	v_mul_lo_u32 v11, v0, s38
	v_lshrrev_b32_e32 v0, s7, v10
	s_add_i32 s82, s82, 4
	v_mul_lo_u32 v10, v0, s5
	s_add_u32 s58, s58, 16
	v_sub_u32_e32 v10, v17, v10
	s_addc_u32 s59, s59, 0
	v_mul_lo_u32 v10, v10, s39
	s_cmp_lg_u32 s67, s82
	v_add3_u32 v10, v11, v5, v10
	s_cbranch_scc1 .LBB7_24
; %bb.25:                               ;   in Loop: Header=BB7_9 Depth=1
	s_mov_b32 s4, s67
	s_andn2_b64 vcc, exec, s[54:55]
	s_cbranch_vccz .LBB7_29
	s_branch .LBB7_31
.LBB7_26:                               ;   in Loop: Header=BB7_9 Depth=1
                                        ; implicit-def: $vgpr10
	s_branch .LBB7_32
.LBB7_27:                               ;   in Loop: Header=BB7_9 Depth=1
	v_mov_b32_e32 v10, 0
	s_branch .LBB7_31
.LBB7_28:                               ;   in Loop: Header=BB7_9 Depth=1
	v_mov_b32_e32 v0, v14
	s_andn2_b64 vcc, exec, s[54:55]
	s_cbranch_vccnz .LBB7_31
.LBB7_29:                               ;   in Loop: Header=BB7_9 Depth=1
	s_lshl_b32 s2, s4, 2
	s_add_u32 s2, s44, s2
	s_addc_u32 s3, s45, 0
	s_mul_i32 s4, s4, 12
	s_add_u32 s4, s34, s4
	s_addc_u32 s5, s35, 0
	s_mov_b32 s6, s66
.LBB7_30:                               ;   Parent Loop BB7_9 Depth=1
                                        ; =>  This Inner Loop Header: Depth=2
	s_load_dwordx2 s[16:17], s[4:5], 0x4
	s_load_dword s7, s[4:5], 0xc
	s_load_dword s18, s[2:3], 0x0
	s_add_u32 s4, s4, 12
	s_addc_u32 s5, s5, 0
	s_waitcnt lgkmcnt(0)
	v_mul_hi_u32 v5, s17, v0
	v_add_u32_e32 v5, v0, v5
	v_lshrrev_b32_e32 v5, s7, v5
	s_add_u32 s2, s2, 4
	v_mul_lo_u32 v11, v5, s16
	s_addc_u32 s3, s3, 0
	s_add_i32 s6, s6, -1
	v_sub_u32_e32 v11, v0, v11
	s_cmp_lg_u32 s6, 0
	v_mov_b32_e32 v0, v5
	v_mad_u64_u32 v[10:11], s[16:17], v11, s18, v[10:11]
	s_cbranch_scc1 .LBB7_30
.LBB7_31:                               ;   in Loop: Header=BB7_9 Depth=1
	s_cbranch_execnz .LBB7_34
.LBB7_32:                               ;   in Loop: Header=BB7_9 Depth=1
	v_mul_hi_u32 v0, v14, s10
	v_add_u32_e32 v0, v0, v14
	v_lshrrev_b32_e32 v0, s11, v0
	v_mul_lo_u32 v5, v0, s9
	v_sub_u32_e32 v5, v14, v5
	s_andn2_b64 vcc, exec, s[46:47]
	s_waitcnt lgkmcnt(0)
	v_mul_lo_u32 v10, v5, s48
	s_cbranch_vccnz .LBB7_34
; %bb.33:                               ;   in Loop: Header=BB7_9 Depth=1
	v_mul_hi_u32 v5, s8, v0
	v_add_u32_e32 v5, v0, v5
	v_lshrrev_b32_e32 v5, s14, v5
	v_mul_lo_u32 v5, v5, s12
	v_sub_u32_e32 v0, v0, v5
	v_mad_u64_u32 v[10:11], s[2:3], v0, s49, v[10:11]
.LBB7_34:                               ;   in Loop: Header=BB7_9 Depth=1
	v_cvt_f32_u32_e32 v0, v6
	v_mov_b32_e32 v5, 0x2f800000
                                        ; implicit-def: $vgpr11
	v_fmac_f32_e32 v5, 0x2f800000, v0
	v_cmp_nlt_f32_e32 vcc, s68, v5
	v_cndmask_b32_e32 v0, v42, v5, vcc
	v_cmp_ngt_f32_e32 vcc, s69, v0
	v_cndmask_b32_e32 v0, v43, v0, vcc
	v_add_f32_e32 v0, -0.5, v0
	v_mul_f32_e32 v5, 0x40490fdb, v0
	v_and_b32_e32 v6, 0x7fffffff, v5
	v_cmp_nlt_f32_e64 s[2:3], |v5|, s70
                                        ; implicit-def: $vgpr0
	s_and_saveexec_b64 s[4:5], s[2:3]
	s_xor_b64 s[16:17], exec, s[4:5]
	s_cbranch_execz .LBB7_36
; %bb.35:                               ;   in Loop: Header=BB7_9 Depth=1
	v_lshrrev_b32_e32 v0, 23, v6
	v_add_u32_e32 v0, 0xffffff88, v0
	v_cmp_lt_u32_e32 vcc, 63, v0
	v_cndmask_b32_e32 v11, 0, v44, vcc
	v_add_u32_e32 v0, v11, v0
	v_cmp_lt_u32_e64 s[2:3], 31, v0
	v_cndmask_b32_e64 v11, 0, v45, s[2:3]
	v_add_u32_e32 v0, v11, v0
	v_cmp_lt_u32_e64 s[4:5], 31, v0
	v_cndmask_b32_e64 v11, 0, v45, s[4:5]
	v_add_u32_e32 v11, v11, v0
	v_and_b32_e32 v0, 0x7fffff, v6
	v_or_b32_e32 v17, 0x800000, v0
	v_mad_u64_u32 v[18:19], s[6:7], v17, s71, 0
	v_mov_b32_e32 v0, v19
	v_mad_u64_u32 v[50:51], s[6:7], v17, s72, v[0:1]
	v_mov_b32_e32 v0, v51
	v_mad_u64_u32 v[52:53], s[6:7], v17, s73, v[0:1]
	v_mov_b32_e32 v0, v53
	v_mad_u64_u32 v[54:55], s[6:7], v17, s74, v[0:1]
	v_mov_b32_e32 v0, v55
	v_mad_u64_u32 v[56:57], s[6:7], v17, s75, v[0:1]
	v_mov_b32_e32 v0, v57
	v_mad_u64_u32 v[58:59], s[6:7], v17, s76, v[0:1]
	v_mov_b32_e32 v0, v59
	v_mad_u64_u32 v[60:61], s[6:7], v17, s77, v[0:1]
	v_cndmask_b32_e32 v19, v58, v54, vcc
	v_cndmask_b32_e32 v0, v60, v56, vcc
	v_cndmask_b32_e32 v49, v61, v58, vcc
	v_cndmask_b32_e64 v17, v0, v19, s[2:3]
	v_cndmask_b32_e64 v0, v49, v0, s[2:3]
	v_cndmask_b32_e32 v49, v56, v52, vcc
	v_cndmask_b32_e64 v19, v19, v49, s[2:3]
	v_cndmask_b32_e64 v0, v0, v17, s[4:5]
	;; [unrolled: 1-line block ×3, first 2 shown]
	v_sub_u32_e32 v51, 32, v11
	v_alignbit_b32 v53, v0, v17, v51
	v_cmp_eq_u32_e64 s[6:7], 0, v11
	v_cndmask_b32_e64 v11, v53, v0, s[6:7]
	v_cndmask_b32_e32 v0, v54, v50, vcc
	v_cndmask_b32_e64 v49, v49, v0, s[2:3]
	v_cndmask_b32_e64 v19, v19, v49, s[4:5]
	v_alignbit_b32 v50, v17, v19, v51
	v_cndmask_b32_e32 v18, v52, v18, vcc
	v_cndmask_b32_e64 v17, v50, v17, s[6:7]
	v_bfe_u32 v54, v11, 29, 1
	v_cndmask_b32_e64 v0, v0, v18, s[2:3]
	v_alignbit_b32 v50, v11, v17, 30
	v_sub_u32_e32 v55, 0, v54
	v_cndmask_b32_e64 v0, v49, v0, s[4:5]
	v_xor_b32_e32 v56, v50, v55
	v_alignbit_b32 v18, v19, v0, v51
	v_cndmask_b32_e64 v18, v18, v19, s[6:7]
	v_ffbh_u32_e32 v19, v56
	v_add_u32_e32 v19, 1, v19
	v_cmp_ne_u32_e32 vcc, v50, v55
	v_alignbit_b32 v17, v17, v18, 30
	v_cndmask_b32_e32 v19, 33, v19, vcc
	v_alignbit_b32 v0, v18, v0, 30
	v_xor_b32_e32 v17, v17, v55
	v_sub_u32_e32 v49, 32, v19
	v_xor_b32_e32 v0, v0, v55
	v_alignbit_b32 v50, v56, v17, v49
	v_alignbit_b32 v0, v17, v0, v49
	v_alignbit_b32 v17, v50, v0, 9
	v_ffbh_u32_e32 v18, v17
	v_min_u32_e32 v18, 32, v18
	v_lshrrev_b32_e32 v53, 29, v11
	v_sub_u32_e32 v49, 31, v18
	v_alignbit_b32 v0, v17, v0, v49
	v_lshlrev_b32_e32 v17, 31, v53
	v_or_b32_e32 v49, 0x33800000, v17
	v_add_lshl_u32 v18, v18, v19, 23
	v_lshrrev_b32_e32 v0, 9, v0
	v_sub_u32_e32 v18, v49, v18
	v_or_b32_e32 v0, v18, v0
	v_alignbit_b32 v18, v19, v50, 9
	v_or_b32_e32 v17, v18, v17
	v_xor_b32_e32 v17, 1.0, v17
	v_mul_f32_e32 v18, 0x3fc90fda, v17
	v_fma_f32 v19, v17, s78, -v18
	v_fmac_f32_e32 v19, 0x33a22168, v17
	v_fmac_f32_e32 v19, 0x3fc90fda, v0
	v_lshrrev_b32_e32 v11, 30, v11
	v_add_f32_e32 v0, v18, v19
	v_add_u32_e32 v11, v54, v11
.LBB7_36:                               ;   in Loop: Header=BB7_9 Depth=1
	s_andn2_saveexec_b64 s[2:3], s[16:17]
; %bb.37:                               ;   in Loop: Header=BB7_9 Depth=1
	v_mul_f32_e64 v0, |v5|, s79
	v_rndne_f32_e32 v17, v0
	v_cvt_i32_f32_e32 v11, v17
	v_fma_f32 v0, v17, s80, |v5|
	v_fmac_f32_e32 v0, 0xb3a22168, v17
	v_fmac_f32_e32 v0, 0xa7c234c4, v17
; %bb.38:                               ;   in Loop: Header=BB7_9 Depth=1
	s_or_b64 exec, exec, s[2:3]
	v_mul_f32_e32 v17, v0, v0
	v_mov_b32_e32 v18, 0xbf039337
	v_fmac_f32_e32 v18, 0x3c971480, v17
	v_fma_f32 v18, v17, v18, v41
	v_rcp_f32_e32 v18, v18
	v_mov_b32_e32 v19, 0x3ec54587
	v_fmac_f32_e32 v19, 0xbc8cedd3, v17
	v_and_b32_e32 v11, 1, v11
	v_mul_f32_e32 v18, v19, v18
	v_mul_f32_e32 v17, v17, v18
	v_fma_f32 v18, v17, v0, v0
	v_rcp_f32_e32 v19, v18
	v_sub_f32_e32 v49, v18, v0
	v_fma_f32 v0, v17, v0, -v49
	v_cmp_eq_u32_e32 vcc, 0, v11
	v_fma_f32 v17, v18, -v19, 1.0
	v_fma_f32 v0, v0, -v19, v17
	v_fma_f32 v0, v0, -v19, -v19
	v_cndmask_b32_e32 v0, v0, v18, vcc
	v_xor_b32_e32 v6, v6, v5
	v_xor_b32_e32 v0, v6, v0
	v_cmp_class_f32_e64 vcc, v5, s81
	v_cndmask_b32_e32 v0, v46, v0, vcc
	s_waitcnt lgkmcnt(0)
	v_mov_b32_e32 v5, s30
	v_fma_f32 v0, s31, v0, v5
	global_store_dword v10, v0, s[28:29]
.LBB7_39:                               ;   in Loop: Header=BB7_9 Depth=1
	s_or_b64 exec, exec, s[56:57]
	v_mov_b32_e32 v0, s61
	v_add_co_u32_e32 v18, vcc, s33, v14
	v_addc_co_u32_e32 v19, vcc, v15, v0, vcc
	v_cmp_gt_i64_e32 vcc, s[24:25], v[18:19]
	s_and_saveexec_b64 s[56:57], vcc
	s_cbranch_execz .LBB7_59
; %bb.40:                               ;   in Loop: Header=BB7_9 Depth=1
	s_and_b64 vcc, exec, s[0:1]
	s_cbranch_vccnz .LBB7_46
; %bb.41:                               ;   in Loop: Header=BB7_9 Depth=1
	s_andn2_b64 vcc, exec, s[42:43]
	s_cbranch_vccnz .LBB7_47
; %bb.42:                               ;   in Loop: Header=BB7_9 Depth=1
	s_mov_b32 s4, 0
	s_andn2_b64 vcc, exec, s[50:51]
	v_mov_b32_e32 v10, 0
	s_cbranch_vccnz .LBB7_48
; %bb.43:                               ;   in Loop: Header=BB7_9 Depth=1
	s_mov_b32 s82, 0
	v_mov_b32_e32 v10, 0
	s_mov_b64 s[2:3], s[34:35]
	s_mov_b64 s[58:59], s[44:45]
	v_mov_b32_e32 v0, v18
.LBB7_44:                               ;   Parent Loop BB7_9 Depth=1
                                        ; =>  This Inner Loop Header: Depth=2
	s_load_dwordx8 s[16:23], s[2:3], 0x4
	s_load_dwordx4 s[4:7], s[2:3], 0x24
	s_load_dwordx4 s[36:39], s[58:59], 0x0
	s_add_u32 s2, s2, 48
	s_addc_u32 s3, s3, 0
	s_waitcnt lgkmcnt(0)
	v_mul_hi_u32 v5, s17, v0
	v_add_u32_e32 v5, v0, v5
	v_lshrrev_b32_e32 v5, s18, v5
	v_mul_lo_u32 v6, v5, s16
	v_mul_hi_u32 v11, s20, v5
	v_sub_u32_e32 v0, v0, v6
	v_add_u32_e32 v6, v5, v11
	v_lshrrev_b32_e32 v6, s21, v6
	v_mul_lo_u32 v11, v6, s19
	v_mul_hi_u32 v17, s23, v6
	v_sub_u32_e32 v5, v5, v11
	v_add_u32_e32 v11, v6, v17
	v_mul_lo_u32 v0, v0, s36
	v_mul_lo_u32 v5, v5, s37
	v_lshrrev_b32_e32 v11, s4, v11
	v_add3_u32 v5, v0, v10, v5
	v_mul_lo_u32 v0, v11, s22
	v_mul_hi_u32 v10, s6, v11
	v_sub_u32_e32 v0, v6, v0
	v_add_u32_e32 v6, v11, v10
	v_mul_lo_u32 v10, v0, s38
	v_lshrrev_b32_e32 v0, s7, v6
	s_add_i32 s82, s82, 4
	v_mul_lo_u32 v6, v0, s5
	s_add_u32 s58, s58, 16
	v_sub_u32_e32 v6, v11, v6
	s_addc_u32 s59, s59, 0
	v_mul_lo_u32 v6, v6, s39
	s_cmp_eq_u32 s67, s82
	v_add3_u32 v10, v10, v5, v6
	s_cbranch_scc0 .LBB7_44
; %bb.45:                               ;   in Loop: Header=BB7_9 Depth=1
	s_mov_b32 s4, s67
	s_andn2_b64 vcc, exec, s[54:55]
	s_cbranch_vccz .LBB7_49
	s_branch .LBB7_51
.LBB7_46:                               ;   in Loop: Header=BB7_9 Depth=1
                                        ; implicit-def: $vgpr10
	s_branch .LBB7_52
.LBB7_47:                               ;   in Loop: Header=BB7_9 Depth=1
	v_mov_b32_e32 v10, 0
	s_branch .LBB7_51
.LBB7_48:                               ;   in Loop: Header=BB7_9 Depth=1
	v_mov_b32_e32 v0, v18
	s_andn2_b64 vcc, exec, s[54:55]
	s_cbranch_vccnz .LBB7_51
.LBB7_49:                               ;   in Loop: Header=BB7_9 Depth=1
	s_lshl_b32 s2, s4, 2
	s_add_u32 s2, s44, s2
	s_addc_u32 s3, s45, 0
	s_mul_i32 s4, s4, 12
	s_add_u32 s4, s34, s4
	s_addc_u32 s5, s35, 0
	s_mov_b32 s6, s66
.LBB7_50:                               ;   Parent Loop BB7_9 Depth=1
                                        ; =>  This Inner Loop Header: Depth=2
	s_load_dwordx2 s[16:17], s[4:5], 0x4
	s_load_dword s7, s[4:5], 0xc
	s_load_dword s18, s[2:3], 0x0
	s_add_u32 s4, s4, 12
	s_addc_u32 s5, s5, 0
	s_waitcnt lgkmcnt(0)
	v_mul_hi_u32 v5, s17, v0
	v_add_u32_e32 v5, v0, v5
	v_lshrrev_b32_e32 v5, s7, v5
	s_add_u32 s2, s2, 4
	v_mul_lo_u32 v6, v5, s16
	s_addc_u32 s3, s3, 0
	s_add_i32 s6, s6, -1
	v_sub_u32_e32 v6, v0, v6
	s_cmp_lg_u32 s6, 0
	v_mov_b32_e32 v0, v5
	v_mad_u64_u32 v[10:11], s[16:17], v6, s18, v[10:11]
	s_cbranch_scc1 .LBB7_50
.LBB7_51:                               ;   in Loop: Header=BB7_9 Depth=1
	s_cbranch_execnz .LBB7_54
.LBB7_52:                               ;   in Loop: Header=BB7_9 Depth=1
	v_mul_hi_u32 v0, v18, s10
	v_add_u32_e32 v0, v0, v18
	v_lshrrev_b32_e32 v0, s11, v0
	v_mul_lo_u32 v5, v0, s9
	v_sub_u32_e32 v5, v18, v5
	s_andn2_b64 vcc, exec, s[46:47]
	s_waitcnt lgkmcnt(0)
	v_mul_lo_u32 v10, v5, s48
	s_cbranch_vccnz .LBB7_54
; %bb.53:                               ;   in Loop: Header=BB7_9 Depth=1
	v_mul_hi_u32 v5, s8, v0
	v_add_u32_e32 v5, v0, v5
	v_lshrrev_b32_e32 v5, s14, v5
	v_mul_lo_u32 v5, v5, s12
	v_sub_u32_e32 v0, v0, v5
	v_mad_u64_u32 v[10:11], s[2:3], v0, s49, v[10:11]
.LBB7_54:                               ;   in Loop: Header=BB7_9 Depth=1
	v_cvt_f32_u32_e32 v0, v7
	v_mov_b32_e32 v5, 0x2f800000
                                        ; implicit-def: $vgpr7
	v_fmac_f32_e32 v5, 0x2f800000, v0
	v_cmp_nlt_f32_e32 vcc, s68, v5
	v_cndmask_b32_e32 v0, v42, v5, vcc
	v_cmp_ngt_f32_e32 vcc, s69, v0
	v_cndmask_b32_e32 v0, v43, v0, vcc
	v_add_f32_e32 v0, -0.5, v0
	v_mul_f32_e32 v5, 0x40490fdb, v0
	v_and_b32_e32 v6, 0x7fffffff, v5
	v_cmp_nlt_f32_e64 s[2:3], |v5|, s70
                                        ; implicit-def: $vgpr0
	s_and_saveexec_b64 s[4:5], s[2:3]
	s_xor_b64 s[16:17], exec, s[4:5]
	s_cbranch_execz .LBB7_56
; %bb.55:                               ;   in Loop: Header=BB7_9 Depth=1
	v_lshrrev_b32_e32 v0, 23, v6
	v_add_u32_e32 v0, 0xffffff88, v0
	v_cmp_lt_u32_e32 vcc, 63, v0
	v_cndmask_b32_e32 v7, 0, v44, vcc
	v_add_u32_e32 v0, v7, v0
	v_cmp_lt_u32_e64 s[2:3], 31, v0
	v_cndmask_b32_e64 v7, 0, v45, s[2:3]
	v_add_u32_e32 v0, v7, v0
	v_cmp_lt_u32_e64 s[4:5], 31, v0
	v_cndmask_b32_e64 v7, 0, v45, s[4:5]
	v_add_u32_e32 v7, v7, v0
	v_and_b32_e32 v0, 0x7fffff, v6
	v_or_b32_e32 v11, 0x800000, v0
	v_mad_u64_u32 v[18:19], s[6:7], v11, s71, 0
	v_mov_b32_e32 v0, v19
	v_mad_u64_u32 v[50:51], s[6:7], v11, s72, v[0:1]
	v_mov_b32_e32 v0, v51
	;; [unrolled: 2-line block ×6, first 2 shown]
	v_mad_u64_u32 v[60:61], s[6:7], v11, s77, v[0:1]
	v_cndmask_b32_e32 v17, v58, v54, vcc
	v_cndmask_b32_e32 v0, v60, v56, vcc
	;; [unrolled: 1-line block ×3, first 2 shown]
	v_cndmask_b32_e64 v11, v0, v17, s[2:3]
	v_cndmask_b32_e64 v0, v19, v0, s[2:3]
	v_cndmask_b32_e32 v19, v56, v52, vcc
	v_cndmask_b32_e64 v17, v17, v19, s[2:3]
	v_cndmask_b32_e64 v0, v0, v11, s[4:5]
	;; [unrolled: 1-line block ×3, first 2 shown]
	v_sub_u32_e32 v49, 32, v7
	v_alignbit_b32 v51, v0, v11, v49
	v_cmp_eq_u32_e64 s[6:7], 0, v7
	v_cndmask_b32_e64 v7, v51, v0, s[6:7]
	v_cndmask_b32_e32 v0, v54, v50, vcc
	v_cndmask_b32_e64 v19, v19, v0, s[2:3]
	v_cndmask_b32_e64 v17, v17, v19, s[4:5]
	v_alignbit_b32 v50, v11, v17, v49
	v_cndmask_b32_e32 v18, v52, v18, vcc
	v_cndmask_b32_e64 v11, v50, v11, s[6:7]
	v_bfe_u32 v53, v7, 29, 1
	v_cndmask_b32_e64 v0, v0, v18, s[2:3]
	v_alignbit_b32 v50, v7, v11, 30
	v_sub_u32_e32 v54, 0, v53
	v_cndmask_b32_e64 v0, v19, v0, s[4:5]
	v_xor_b32_e32 v55, v50, v54
	v_alignbit_b32 v18, v17, v0, v49
	v_cndmask_b32_e64 v17, v18, v17, s[6:7]
	v_ffbh_u32_e32 v18, v55
	v_add_u32_e32 v18, 1, v18
	v_cmp_ne_u32_e32 vcc, v50, v54
	v_alignbit_b32 v11, v11, v17, 30
	v_cndmask_b32_e32 v18, 33, v18, vcc
	v_alignbit_b32 v0, v17, v0, 30
	v_xor_b32_e32 v11, v11, v54
	v_sub_u32_e32 v19, 32, v18
	v_xor_b32_e32 v0, v0, v54
	v_alignbit_b32 v49, v55, v11, v19
	v_alignbit_b32 v0, v11, v0, v19
	;; [unrolled: 1-line block ×3, first 2 shown]
	v_ffbh_u32_e32 v17, v11
	v_min_u32_e32 v17, 32, v17
	v_lshrrev_b32_e32 v51, 29, v7
	v_sub_u32_e32 v19, 31, v17
	v_alignbit_b32 v0, v11, v0, v19
	v_lshlrev_b32_e32 v11, 31, v51
	v_or_b32_e32 v19, 0x33800000, v11
	v_add_lshl_u32 v17, v17, v18, 23
	v_lshrrev_b32_e32 v0, 9, v0
	v_sub_u32_e32 v17, v19, v17
	v_or_b32_e32 v0, v17, v0
	v_alignbit_b32 v17, v18, v49, 9
	v_or_b32_e32 v11, v17, v11
	v_xor_b32_e32 v11, 1.0, v11
	v_mul_f32_e32 v17, 0x3fc90fda, v11
	v_fma_f32 v18, v11, s78, -v17
	v_fmac_f32_e32 v18, 0x33a22168, v11
	v_fmac_f32_e32 v18, 0x3fc90fda, v0
	v_lshrrev_b32_e32 v7, 30, v7
	v_add_f32_e32 v0, v17, v18
	v_add_u32_e32 v7, v53, v7
.LBB7_56:                               ;   in Loop: Header=BB7_9 Depth=1
	s_andn2_saveexec_b64 s[2:3], s[16:17]
; %bb.57:                               ;   in Loop: Header=BB7_9 Depth=1
	v_mul_f32_e64 v0, |v5|, s79
	v_rndne_f32_e32 v11, v0
	v_cvt_i32_f32_e32 v7, v11
	v_fma_f32 v0, v11, s80, |v5|
	v_fmac_f32_e32 v0, 0xb3a22168, v11
	v_fmac_f32_e32 v0, 0xa7c234c4, v11
; %bb.58:                               ;   in Loop: Header=BB7_9 Depth=1
	s_or_b64 exec, exec, s[2:3]
	v_mul_f32_e32 v11, v0, v0
	v_mov_b32_e32 v17, 0xbf039337
	v_fmac_f32_e32 v17, 0x3c971480, v11
	v_fma_f32 v17, v11, v17, v41
	v_rcp_f32_e32 v17, v17
	v_mov_b32_e32 v18, 0x3ec54587
	v_fmac_f32_e32 v18, 0xbc8cedd3, v11
	v_and_b32_e32 v7, 1, v7
	v_mul_f32_e32 v17, v18, v17
	v_mul_f32_e32 v11, v11, v17
	v_fma_f32 v17, v11, v0, v0
	v_rcp_f32_e32 v18, v17
	v_sub_f32_e32 v19, v17, v0
	v_fma_f32 v0, v11, v0, -v19
	v_cmp_eq_u32_e32 vcc, 0, v7
	v_fma_f32 v11, v17, -v18, 1.0
	v_fma_f32 v0, v0, -v18, v11
	v_fma_f32 v0, v0, -v18, -v18
	v_cndmask_b32_e32 v0, v0, v17, vcc
	v_xor_b32_e32 v6, v6, v5
	v_xor_b32_e32 v0, v6, v0
	v_cmp_class_f32_e64 vcc, v5, s81
	v_cndmask_b32_e32 v0, v46, v0, vcc
	s_waitcnt lgkmcnt(0)
	v_mov_b32_e32 v5, s30
	v_fma_f32 v0, s31, v0, v5
	global_store_dword v10, v0, s[28:29]
.LBB7_59:                               ;   in Loop: Header=BB7_9 Depth=1
	s_or_b64 exec, exec, s[56:57]
	v_mov_b32_e32 v0, s15
	v_add_co_u32_e32 v10, vcc, s13, v14
	v_addc_co_u32_e32 v11, vcc, v15, v0, vcc
	v_cmp_gt_i64_e32 vcc, s[24:25], v[10:11]
	s_and_saveexec_b64 s[56:57], vcc
	s_cbranch_execz .LBB7_79
; %bb.60:                               ;   in Loop: Header=BB7_9 Depth=1
	s_and_b64 vcc, exec, s[0:1]
	s_cbranch_vccnz .LBB7_66
; %bb.61:                               ;   in Loop: Header=BB7_9 Depth=1
	s_andn2_b64 vcc, exec, s[42:43]
	s_cbranch_vccnz .LBB7_67
; %bb.62:                               ;   in Loop: Header=BB7_9 Depth=1
	s_mov_b32 s4, 0
	s_andn2_b64 vcc, exec, s[50:51]
	v_mov_b32_e32 v6, 0
	s_cbranch_vccnz .LBB7_68
; %bb.63:                               ;   in Loop: Header=BB7_9 Depth=1
	s_mov_b32 s82, 0
	v_mov_b32_e32 v6, 0
	s_mov_b64 s[2:3], s[34:35]
	s_mov_b64 s[58:59], s[44:45]
	v_mov_b32_e32 v0, v10
.LBB7_64:                               ;   Parent Loop BB7_9 Depth=1
                                        ; =>  This Inner Loop Header: Depth=2
	s_load_dwordx8 s[16:23], s[2:3], 0x4
	s_load_dwordx4 s[4:7], s[2:3], 0x24
	s_load_dwordx4 s[36:39], s[58:59], 0x0
	s_add_u32 s2, s2, 48
	s_addc_u32 s3, s3, 0
	s_waitcnt lgkmcnt(0)
	v_mul_hi_u32 v5, s17, v0
	v_add_u32_e32 v5, v0, v5
	v_lshrrev_b32_e32 v5, s18, v5
	v_mul_lo_u32 v7, v5, s16
	v_mul_hi_u32 v11, s20, v5
	v_sub_u32_e32 v0, v0, v7
	v_add_u32_e32 v7, v5, v11
	v_lshrrev_b32_e32 v7, s21, v7
	v_mul_lo_u32 v11, v7, s19
	v_mul_hi_u32 v17, s23, v7
	v_sub_u32_e32 v5, v5, v11
	v_add_u32_e32 v11, v7, v17
	v_mul_lo_u32 v0, v0, s36
	v_mul_lo_u32 v5, v5, s37
	v_lshrrev_b32_e32 v11, s4, v11
	v_add3_u32 v5, v0, v6, v5
	v_mul_lo_u32 v0, v11, s22
	v_mul_hi_u32 v6, s6, v11
	v_sub_u32_e32 v0, v7, v0
	v_add_u32_e32 v6, v11, v6
	v_mul_lo_u32 v7, v0, s38
	v_lshrrev_b32_e32 v0, s7, v6
	s_add_i32 s82, s82, 4
	v_mul_lo_u32 v6, v0, s5
	s_add_u32 s58, s58, 16
	v_sub_u32_e32 v6, v11, v6
	s_addc_u32 s59, s59, 0
	v_mul_lo_u32 v6, v6, s39
	s_cmp_eq_u32 s67, s82
	v_add3_u32 v6, v7, v5, v6
	s_cbranch_scc0 .LBB7_64
; %bb.65:                               ;   in Loop: Header=BB7_9 Depth=1
	s_mov_b32 s4, s67
	s_andn2_b64 vcc, exec, s[54:55]
	s_cbranch_vccz .LBB7_69
	s_branch .LBB7_71
.LBB7_66:                               ;   in Loop: Header=BB7_9 Depth=1
                                        ; implicit-def: $vgpr6
	s_branch .LBB7_72
.LBB7_67:                               ;   in Loop: Header=BB7_9 Depth=1
	v_mov_b32_e32 v6, 0
	s_branch .LBB7_71
.LBB7_68:                               ;   in Loop: Header=BB7_9 Depth=1
	v_mov_b32_e32 v0, v10
	s_andn2_b64 vcc, exec, s[54:55]
	s_cbranch_vccnz .LBB7_71
.LBB7_69:                               ;   in Loop: Header=BB7_9 Depth=1
	s_lshl_b32 s2, s4, 2
	s_add_u32 s2, s44, s2
	s_addc_u32 s3, s45, 0
	s_mul_i32 s4, s4, 12
	s_add_u32 s4, s34, s4
	s_addc_u32 s5, s35, 0
	s_mov_b32 s6, s66
.LBB7_70:                               ;   Parent Loop BB7_9 Depth=1
                                        ; =>  This Inner Loop Header: Depth=2
	s_load_dwordx2 s[16:17], s[4:5], 0x4
	s_load_dword s7, s[4:5], 0xc
	s_load_dword s18, s[2:3], 0x0
	s_add_u32 s4, s4, 12
	s_addc_u32 s5, s5, 0
	s_waitcnt lgkmcnt(0)
	v_mul_hi_u32 v5, s17, v0
	v_add_u32_e32 v5, v0, v5
	v_lshrrev_b32_e32 v5, s7, v5
	s_add_u32 s2, s2, 4
	v_mul_lo_u32 v7, v5, s16
	s_addc_u32 s3, s3, 0
	s_add_i32 s6, s6, -1
	v_sub_u32_e32 v7, v0, v7
	s_cmp_lg_u32 s6, 0
	v_mov_b32_e32 v0, v5
	v_mad_u64_u32 v[6:7], s[16:17], v7, s18, v[6:7]
	s_cbranch_scc1 .LBB7_70
.LBB7_71:                               ;   in Loop: Header=BB7_9 Depth=1
	s_cbranch_execnz .LBB7_74
.LBB7_72:                               ;   in Loop: Header=BB7_9 Depth=1
	v_mul_hi_u32 v0, v10, s10
	v_add_u32_e32 v0, v0, v10
	v_lshrrev_b32_e32 v0, s11, v0
	v_mul_lo_u32 v5, v0, s9
	v_sub_u32_e32 v5, v10, v5
	s_andn2_b64 vcc, exec, s[46:47]
	s_waitcnt lgkmcnt(0)
	v_mul_lo_u32 v6, v5, s48
	s_cbranch_vccnz .LBB7_74
; %bb.73:                               ;   in Loop: Header=BB7_9 Depth=1
	v_mul_hi_u32 v5, s8, v0
	v_add_u32_e32 v5, v0, v5
	v_lshrrev_b32_e32 v5, s14, v5
	v_mul_lo_u32 v5, v5, s12
	v_sub_u32_e32 v0, v0, v5
	v_mad_u64_u32 v[6:7], s[2:3], v0, s49, v[6:7]
.LBB7_74:                               ;   in Loop: Header=BB7_9 Depth=1
	v_cvt_f32_u32_e32 v0, v8
	v_mov_b32_e32 v5, 0x2f800000
                                        ; implicit-def: $vgpr8
	v_fmac_f32_e32 v5, 0x2f800000, v0
	v_cmp_nlt_f32_e32 vcc, s68, v5
	v_cndmask_b32_e32 v0, v42, v5, vcc
	v_cmp_ngt_f32_e32 vcc, s69, v0
	v_cndmask_b32_e32 v0, v43, v0, vcc
	v_add_f32_e32 v0, -0.5, v0
	v_mul_f32_e32 v5, 0x40490fdb, v0
	v_and_b32_e32 v7, 0x7fffffff, v5
	v_cmp_nlt_f32_e64 s[2:3], |v5|, s70
                                        ; implicit-def: $vgpr0
	s_and_saveexec_b64 s[4:5], s[2:3]
	s_xor_b64 s[16:17], exec, s[4:5]
	s_cbranch_execz .LBB7_76
; %bb.75:                               ;   in Loop: Header=BB7_9 Depth=1
	v_lshrrev_b32_e32 v0, 23, v7
	v_add_u32_e32 v0, 0xffffff88, v0
	v_cmp_lt_u32_e32 vcc, 63, v0
	v_cndmask_b32_e32 v8, 0, v44, vcc
	v_add_u32_e32 v0, v8, v0
	v_cmp_lt_u32_e64 s[2:3], 31, v0
	v_cndmask_b32_e64 v8, 0, v45, s[2:3]
	v_add_u32_e32 v0, v8, v0
	v_cmp_lt_u32_e64 s[4:5], 31, v0
	v_cndmask_b32_e64 v8, 0, v45, s[4:5]
	v_add_u32_e32 v8, v8, v0
	v_and_b32_e32 v0, 0x7fffff, v7
	v_or_b32_e32 v17, 0x800000, v0
	v_mad_u64_u32 v[10:11], s[6:7], v17, s71, 0
	v_mov_b32_e32 v0, v11
	v_mad_u64_u32 v[18:19], s[6:7], v17, s72, v[0:1]
	v_mov_b32_e32 v0, v19
	;; [unrolled: 2-line block ×6, first 2 shown]
	v_mad_u64_u32 v[58:59], s[6:7], v17, s77, v[0:1]
	v_cndmask_b32_e32 v11, v56, v52, vcc
	v_cndmask_b32_e32 v0, v58, v54, vcc
	;; [unrolled: 1-line block ×3, first 2 shown]
	v_cndmask_b32_e64 v17, v0, v11, s[2:3]
	v_cndmask_b32_e64 v0, v19, v0, s[2:3]
	v_cndmask_b32_e32 v19, v54, v50, vcc
	v_cndmask_b32_e64 v11, v11, v19, s[2:3]
	v_cndmask_b32_e64 v0, v0, v17, s[4:5]
	;; [unrolled: 1-line block ×3, first 2 shown]
	v_sub_u32_e32 v49, 32, v8
	v_alignbit_b32 v51, v0, v17, v49
	v_cmp_eq_u32_e64 s[6:7], 0, v8
	v_cndmask_b32_e64 v8, v51, v0, s[6:7]
	v_cndmask_b32_e32 v0, v52, v18, vcc
	v_cndmask_b32_e64 v18, v19, v0, s[2:3]
	v_cndmask_b32_e64 v11, v11, v18, s[4:5]
	v_cndmask_b32_e32 v10, v50, v10, vcc
	v_alignbit_b32 v19, v17, v11, v49
	v_cndmask_b32_e64 v0, v0, v10, s[2:3]
	v_cndmask_b32_e64 v17, v19, v17, s[6:7]
	v_bfe_u32 v52, v8, 29, 1
	v_cndmask_b32_e64 v0, v18, v0, s[4:5]
	v_alignbit_b32 v19, v8, v17, 30
	v_sub_u32_e32 v53, 0, v52
	v_alignbit_b32 v10, v11, v0, v49
	v_xor_b32_e32 v54, v19, v53
	v_cndmask_b32_e64 v10, v10, v11, s[6:7]
	v_alignbit_b32 v11, v17, v10, 30
	v_ffbh_u32_e32 v17, v54
	v_add_u32_e32 v17, 1, v17
	v_cmp_ne_u32_e32 vcc, v19, v53
	v_cndmask_b32_e32 v17, 33, v17, vcc
	v_alignbit_b32 v0, v10, v0, 30
	v_xor_b32_e32 v11, v11, v53
	v_sub_u32_e32 v18, 32, v17
	v_xor_b32_e32 v0, v0, v53
	v_alignbit_b32 v19, v54, v11, v18
	v_alignbit_b32 v0, v11, v0, v18
	;; [unrolled: 1-line block ×3, first 2 shown]
	v_ffbh_u32_e32 v11, v10
	v_min_u32_e32 v11, 32, v11
	v_lshrrev_b32_e32 v51, 29, v8
	v_sub_u32_e32 v18, 31, v11
	v_alignbit_b32 v0, v10, v0, v18
	v_lshlrev_b32_e32 v10, 31, v51
	v_or_b32_e32 v18, 0x33800000, v10
	v_add_lshl_u32 v11, v11, v17, 23
	v_lshrrev_b32_e32 v0, 9, v0
	v_sub_u32_e32 v11, v18, v11
	v_or_b32_e32 v0, v11, v0
	v_alignbit_b32 v11, v17, v19, 9
	v_or_b32_e32 v10, v11, v10
	v_xor_b32_e32 v10, 1.0, v10
	v_mul_f32_e32 v11, 0x3fc90fda, v10
	v_fma_f32 v17, v10, s78, -v11
	v_fmac_f32_e32 v17, 0x33a22168, v10
	v_fmac_f32_e32 v17, 0x3fc90fda, v0
	v_lshrrev_b32_e32 v8, 30, v8
	v_add_f32_e32 v0, v11, v17
	v_add_u32_e32 v8, v52, v8
.LBB7_76:                               ;   in Loop: Header=BB7_9 Depth=1
	s_andn2_saveexec_b64 s[2:3], s[16:17]
; %bb.77:                               ;   in Loop: Header=BB7_9 Depth=1
	v_mul_f32_e64 v0, |v5|, s79
	v_rndne_f32_e32 v10, v0
	v_cvt_i32_f32_e32 v8, v10
	v_fma_f32 v0, v10, s80, |v5|
	v_fmac_f32_e32 v0, 0xb3a22168, v10
	v_fmac_f32_e32 v0, 0xa7c234c4, v10
; %bb.78:                               ;   in Loop: Header=BB7_9 Depth=1
	s_or_b64 exec, exec, s[2:3]
	v_mul_f32_e32 v10, v0, v0
	v_mov_b32_e32 v11, 0xbf039337
	v_fmac_f32_e32 v11, 0x3c971480, v10
	v_fma_f32 v11, v10, v11, v41
	v_rcp_f32_e32 v11, v11
	v_mov_b32_e32 v17, 0x3ec54587
	v_fmac_f32_e32 v17, 0xbc8cedd3, v10
	v_and_b32_e32 v8, 1, v8
	v_mul_f32_e32 v11, v17, v11
	v_mul_f32_e32 v10, v10, v11
	v_fma_f32 v11, v10, v0, v0
	v_rcp_f32_e32 v17, v11
	v_sub_f32_e32 v18, v11, v0
	v_fma_f32 v0, v10, v0, -v18
	v_cmp_eq_u32_e32 vcc, 0, v8
	v_fma_f32 v10, v11, -v17, 1.0
	v_fma_f32 v0, v0, -v17, v10
	v_fma_f32 v0, v0, -v17, -v17
	v_cndmask_b32_e32 v0, v0, v11, vcc
	v_xor_b32_e32 v7, v7, v5
	v_xor_b32_e32 v0, v7, v0
	v_cmp_class_f32_e64 vcc, v5, s81
	v_cndmask_b32_e32 v0, v46, v0, vcc
	s_waitcnt lgkmcnt(0)
	v_mov_b32_e32 v5, s30
	v_fma_f32 v0, s31, v0, v5
	global_store_dword v6, v0, s[28:29]
.LBB7_79:                               ;   in Loop: Header=BB7_9 Depth=1
	s_or_b64 exec, exec, s[56:57]
	v_mov_b32_e32 v0, s65
	v_add_co_u32_e32 v10, vcc, s64, v14
	v_addc_co_u32_e32 v11, vcc, v15, v0, vcc
	v_cmp_gt_i64_e32 vcc, s[24:25], v[10:11]
	s_and_saveexec_b64 s[36:37], vcc
	s_cbranch_execz .LBB7_8
; %bb.80:                               ;   in Loop: Header=BB7_9 Depth=1
	s_and_b64 vcc, exec, s[0:1]
	s_cbranch_vccnz .LBB7_86
; %bb.81:                               ;   in Loop: Header=BB7_9 Depth=1
	s_andn2_b64 vcc, exec, s[42:43]
	s_cbranch_vccnz .LBB7_87
; %bb.82:                               ;   in Loop: Header=BB7_9 Depth=1
	s_mov_b32 s2, 0
	s_andn2_b64 vcc, exec, s[50:51]
	v_mov_b32_e32 v6, 0
	s_cbranch_vccnz .LBB7_88
; %bb.83:                               ;   in Loop: Header=BB7_9 Depth=1
	s_mov_b32 s58, 0
	v_mov_b32_e32 v6, 0
	s_mov_b64 s[38:39], s[34:35]
	s_mov_b64 s[56:57], s[44:45]
	v_mov_b32_e32 v0, v10
.LBB7_84:                               ;   Parent Loop BB7_9 Depth=1
                                        ; =>  This Inner Loop Header: Depth=2
	s_load_dwordx8 s[0:7], s[38:39], 0x4
	s_load_dwordx4 s[16:19], s[38:39], 0x24
	s_load_dwordx4 s[20:23], s[56:57], 0x0
	s_add_u32 s38, s38, 48
	s_addc_u32 s39, s39, 0
	s_waitcnt lgkmcnt(0)
	v_mul_hi_u32 v5, s1, v0
	v_add_u32_e32 v5, v0, v5
	v_lshrrev_b32_e32 v5, s2, v5
	v_mul_lo_u32 v7, v5, s0
	v_mul_hi_u32 v8, s4, v5
	v_sub_u32_e32 v0, v0, v7
	v_add_u32_e32 v7, v5, v8
	v_lshrrev_b32_e32 v7, s5, v7
	v_mul_lo_u32 v8, v7, s3
	v_mul_hi_u32 v11, s7, v7
	v_sub_u32_e32 v5, v5, v8
	v_add_u32_e32 v8, v7, v11
	v_mul_lo_u32 v0, v0, s20
	v_mul_lo_u32 v5, v5, s21
	v_lshrrev_b32_e32 v8, s16, v8
	v_add3_u32 v5, v0, v6, v5
	v_mul_lo_u32 v0, v8, s6
	v_mul_hi_u32 v6, s18, v8
	v_sub_u32_e32 v0, v7, v0
	v_add_u32_e32 v6, v8, v6
	v_mul_lo_u32 v7, v0, s22
	v_lshrrev_b32_e32 v0, s19, v6
	s_add_i32 s58, s58, 4
	v_mul_lo_u32 v6, v0, s17
	s_add_u32 s56, s56, 16
	v_sub_u32_e32 v6, v8, v6
	s_addc_u32 s57, s57, 0
	v_mul_lo_u32 v6, v6, s23
	s_cmp_eq_u32 s67, s58
	v_add3_u32 v6, v7, v5, v6
	s_cbranch_scc0 .LBB7_84
; %bb.85:                               ;   in Loop: Header=BB7_9 Depth=1
	s_mov_b32 s2, s67
	s_andn2_b64 vcc, exec, s[54:55]
	s_cbranch_vccz .LBB7_89
	s_branch .LBB7_91
.LBB7_86:                               ;   in Loop: Header=BB7_9 Depth=1
                                        ; implicit-def: $vgpr6
	s_branch .LBB7_92
.LBB7_87:                               ;   in Loop: Header=BB7_9 Depth=1
	v_mov_b32_e32 v6, 0
	s_branch .LBB7_91
.LBB7_88:                               ;   in Loop: Header=BB7_9 Depth=1
	v_mov_b32_e32 v0, v10
	s_andn2_b64 vcc, exec, s[54:55]
	s_cbranch_vccnz .LBB7_91
.LBB7_89:                               ;   in Loop: Header=BB7_9 Depth=1
	s_lshl_b32 s0, s2, 2
	s_add_u32 s0, s44, s0
	s_addc_u32 s1, s45, 0
	s_mul_i32 s2, s2, 12
	s_add_u32 s2, s34, s2
	s_addc_u32 s3, s35, 0
	s_mov_b32 s4, s66
.LBB7_90:                               ;   Parent Loop BB7_9 Depth=1
                                        ; =>  This Inner Loop Header: Depth=2
	s_load_dwordx2 s[6:7], s[2:3], 0x4
	s_load_dword s5, s[2:3], 0xc
	s_load_dword s16, s[0:1], 0x0
	s_add_u32 s2, s2, 12
	s_addc_u32 s3, s3, 0
	s_waitcnt lgkmcnt(0)
	v_mul_hi_u32 v5, s7, v0
	v_add_u32_e32 v5, v0, v5
	v_lshrrev_b32_e32 v5, s5, v5
	s_add_u32 s0, s0, 4
	v_mul_lo_u32 v7, v5, s6
	s_addc_u32 s1, s1, 0
	s_add_i32 s4, s4, -1
	v_sub_u32_e32 v7, v0, v7
	s_cmp_lg_u32 s4, 0
	v_mov_b32_e32 v0, v5
	v_mad_u64_u32 v[6:7], s[6:7], v7, s16, v[6:7]
	s_cbranch_scc1 .LBB7_90
.LBB7_91:                               ;   in Loop: Header=BB7_9 Depth=1
	s_cbranch_execnz .LBB7_94
.LBB7_92:                               ;   in Loop: Header=BB7_9 Depth=1
	v_mul_hi_u32 v0, v10, s10
	v_add_u32_e32 v0, v0, v10
	v_lshrrev_b32_e32 v0, s11, v0
	v_mul_lo_u32 v5, v0, s9
	v_sub_u32_e32 v5, v10, v5
	s_andn2_b64 vcc, exec, s[46:47]
	s_waitcnt lgkmcnt(0)
	v_mul_lo_u32 v6, v5, s48
	s_cbranch_vccnz .LBB7_94
; %bb.93:                               ;   in Loop: Header=BB7_9 Depth=1
	v_mul_hi_u32 v5, s8, v0
	v_add_u32_e32 v5, v0, v5
	v_lshrrev_b32_e32 v5, s14, v5
	v_mul_lo_u32 v5, v5, s12
	v_sub_u32_e32 v0, v0, v5
	v_mad_u64_u32 v[6:7], s[0:1], v0, s49, v[6:7]
.LBB7_94:                               ;   in Loop: Header=BB7_9 Depth=1
	v_cvt_f32_u32_e32 v0, v9
	v_mov_b32_e32 v5, 0x2f800000
                                        ; implicit-def: $vgpr8
	v_fmac_f32_e32 v5, 0x2f800000, v0
	v_cmp_nlt_f32_e32 vcc, s68, v5
	v_cndmask_b32_e32 v0, v42, v5, vcc
	v_cmp_ngt_f32_e32 vcc, s69, v0
	v_cndmask_b32_e32 v0, v43, v0, vcc
	v_add_f32_e32 v0, -0.5, v0
	v_mul_f32_e32 v5, 0x40490fdb, v0
	v_and_b32_e32 v7, 0x7fffffff, v5
	v_cmp_nlt_f32_e64 s[0:1], |v5|, s70
                                        ; implicit-def: $vgpr0
	s_and_saveexec_b64 s[2:3], s[0:1]
	s_xor_b64 s[6:7], exec, s[2:3]
	s_cbranch_execz .LBB7_96
; %bb.95:                               ;   in Loop: Header=BB7_9 Depth=1
	v_lshrrev_b32_e32 v0, 23, v7
	v_add_u32_e32 v0, 0xffffff88, v0
	v_cmp_lt_u32_e32 vcc, 63, v0
	v_cndmask_b32_e32 v8, 0, v44, vcc
	v_add_u32_e32 v0, v8, v0
	v_cmp_lt_u32_e64 s[0:1], 31, v0
	v_cndmask_b32_e64 v8, 0, v45, s[0:1]
	v_add_u32_e32 v0, v8, v0
	v_cmp_lt_u32_e64 s[2:3], 31, v0
	v_cndmask_b32_e64 v8, 0, v45, s[2:3]
	v_add_u32_e32 v17, v8, v0
	v_and_b32_e32 v0, 0x7fffff, v7
	v_or_b32_e32 v49, 0x800000, v0
	v_mad_u64_u32 v[8:9], s[4:5], v49, s71, 0
	v_mov_b32_e32 v0, v9
	v_mad_u64_u32 v[10:11], s[4:5], v49, s72, v[0:1]
	v_mov_b32_e32 v0, v11
	;; [unrolled: 2-line block ×6, first 2 shown]
	v_mad_u64_u32 v[56:57], s[4:5], v49, s77, v[0:1]
	v_cndmask_b32_e32 v9, v54, v50, vcc
	v_cndmask_b32_e32 v0, v56, v52, vcc
	;; [unrolled: 1-line block ×3, first 2 shown]
	v_cndmask_b32_e64 v11, v0, v9, s[0:1]
	v_cndmask_b32_e64 v0, v19, v0, s[0:1]
	v_cndmask_b32_e32 v19, v52, v18, vcc
	v_cndmask_b32_e64 v9, v9, v19, s[0:1]
	v_cndmask_b32_e64 v0, v0, v11, s[2:3]
	;; [unrolled: 1-line block ×3, first 2 shown]
	v_sub_u32_e32 v49, 32, v17
	v_alignbit_b32 v51, v0, v11, v49
	v_cmp_eq_u32_e64 s[4:5], 0, v17
	v_cndmask_b32_e64 v17, v51, v0, s[4:5]
	v_cndmask_b32_e32 v0, v50, v10, vcc
	v_cndmask_b32_e64 v10, v19, v0, s[0:1]
	v_cndmask_b32_e64 v9, v9, v10, s[2:3]
	v_alignbit_b32 v19, v11, v9, v49
	v_cndmask_b32_e64 v11, v19, v11, s[4:5]
	v_bfe_u32 v51, v17, 29, 1
	v_cndmask_b32_e32 v8, v18, v8, vcc
	v_alignbit_b32 v19, v17, v11, 30
	v_sub_u32_e32 v52, 0, v51
	v_cndmask_b32_e64 v0, v0, v8, s[0:1]
	v_xor_b32_e32 v53, v19, v52
	v_cndmask_b32_e64 v0, v10, v0, s[2:3]
	v_alignbit_b32 v8, v9, v0, v49
	v_ffbh_u32_e32 v10, v53
	v_cndmask_b32_e64 v8, v8, v9, s[4:5]
	v_add_u32_e32 v10, 1, v10
	v_cmp_ne_u32_e32 vcc, v19, v52
	v_alignbit_b32 v9, v11, v8, 30
	v_cndmask_b32_e32 v10, 33, v10, vcc
	v_alignbit_b32 v0, v8, v0, 30
	v_xor_b32_e32 v9, v9, v52
	v_sub_u32_e32 v11, 32, v10
	v_xor_b32_e32 v0, v0, v52
	v_alignbit_b32 v18, v53, v9, v11
	v_alignbit_b32 v0, v9, v0, v11
	;; [unrolled: 1-line block ×3, first 2 shown]
	v_ffbh_u32_e32 v9, v8
	v_min_u32_e32 v9, 32, v9
	v_lshrrev_b32_e32 v50, 29, v17
	v_sub_u32_e32 v11, 31, v9
	v_alignbit_b32 v0, v8, v0, v11
	v_lshlrev_b32_e32 v8, 31, v50
	v_or_b32_e32 v11, 0x33800000, v8
	v_add_lshl_u32 v9, v9, v10, 23
	v_lshrrev_b32_e32 v0, 9, v0
	v_sub_u32_e32 v9, v11, v9
	v_or_b32_e32 v0, v9, v0
	v_alignbit_b32 v9, v10, v18, 9
	v_or_b32_e32 v8, v9, v8
	v_xor_b32_e32 v8, 1.0, v8
	v_mul_f32_e32 v9, 0x3fc90fda, v8
	v_fma_f32 v10, v8, s78, -v9
	v_fmac_f32_e32 v10, 0x33a22168, v8
	v_fmac_f32_e32 v10, 0x3fc90fda, v0
	v_lshrrev_b32_e32 v8, 30, v17
	v_add_f32_e32 v0, v9, v10
	v_add_u32_e32 v8, v51, v8
.LBB7_96:                               ;   in Loop: Header=BB7_9 Depth=1
	s_andn2_saveexec_b64 s[0:1], s[6:7]
	s_cbranch_execz .LBB7_7
; %bb.97:                               ;   in Loop: Header=BB7_9 Depth=1
	v_mul_f32_e64 v0, |v5|, s79
	v_rndne_f32_e32 v9, v0
	v_cvt_i32_f32_e32 v8, v9
	v_fma_f32 v0, v9, s80, |v5|
	v_fmac_f32_e32 v0, 0xb3a22168, v9
	v_fmac_f32_e32 v0, 0xa7c234c4, v9
	s_branch .LBB7_7
.LBB7_98:
	s_endpgm
.LBB7_99:
                                        ; implicit-def: $sgpr2_sgpr3
	s_andn2_b64 vcc, exec, s[0:1]
	s_cbranch_vccz .LBB7_4
	s_branch .LBB7_5
	.section	.rodata,"a",@progbits
	.p2align	6, 0x0
	.amdhsa_kernel _ZN2at6native12_GLOBAL__N_143distribution_elementwise_grid_stride_kernelIfLi4EZNS0_9templates4cuda21uniform_and_transformIffPNS_17CUDAGeneratorImplEZZZNS4_13cauchy_kernelIS7_EEvRNS_18TensorIteratorBaseEddT_ENKUlvE_clEvENKUlvE0_clEvEUlfE_EEvSA_T1_T2_EUlP25hiprandStatePhilox4_32_10E0_ZNS1_27distribution_nullary_kernelIff15HIP_vector_typeIfLj4EES7_SJ_SE_EEvSA_SG_RKT3_T4_EUlifE0_EEvlNS_15PhiloxCudaStateESF_SG_
		.amdhsa_group_segment_fixed_size 0
		.amdhsa_private_segment_fixed_size 0
		.amdhsa_kernarg_size 584
		.amdhsa_user_sgpr_count 6
		.amdhsa_user_sgpr_private_segment_buffer 1
		.amdhsa_user_sgpr_dispatch_ptr 0
		.amdhsa_user_sgpr_queue_ptr 0
		.amdhsa_user_sgpr_kernarg_segment_ptr 1
		.amdhsa_user_sgpr_dispatch_id 0
		.amdhsa_user_sgpr_flat_scratch_init 0
		.amdhsa_user_sgpr_kernarg_preload_length 0
		.amdhsa_user_sgpr_kernarg_preload_offset 0
		.amdhsa_user_sgpr_private_segment_size 0
		.amdhsa_uses_dynamic_stack 0
		.amdhsa_system_sgpr_private_segment_wavefront_offset 0
		.amdhsa_system_sgpr_workgroup_id_x 1
		.amdhsa_system_sgpr_workgroup_id_y 0
		.amdhsa_system_sgpr_workgroup_id_z 0
		.amdhsa_system_sgpr_workgroup_info 0
		.amdhsa_system_vgpr_workitem_id 0
		.amdhsa_next_free_vgpr 62
		.amdhsa_next_free_sgpr 83
		.amdhsa_accum_offset 64
		.amdhsa_reserve_vcc 1
		.amdhsa_reserve_flat_scratch 0
		.amdhsa_float_round_mode_32 0
		.amdhsa_float_round_mode_16_64 0
		.amdhsa_float_denorm_mode_32 3
		.amdhsa_float_denorm_mode_16_64 3
		.amdhsa_dx10_clamp 1
		.amdhsa_ieee_mode 1
		.amdhsa_fp16_overflow 0
		.amdhsa_tg_split 0
		.amdhsa_exception_fp_ieee_invalid_op 0
		.amdhsa_exception_fp_denorm_src 0
		.amdhsa_exception_fp_ieee_div_zero 0
		.amdhsa_exception_fp_ieee_overflow 0
		.amdhsa_exception_fp_ieee_underflow 0
		.amdhsa_exception_fp_ieee_inexact 0
		.amdhsa_exception_int_div_zero 0
	.end_amdhsa_kernel
	.section	.text._ZN2at6native12_GLOBAL__N_143distribution_elementwise_grid_stride_kernelIfLi4EZNS0_9templates4cuda21uniform_and_transformIffPNS_17CUDAGeneratorImplEZZZNS4_13cauchy_kernelIS7_EEvRNS_18TensorIteratorBaseEddT_ENKUlvE_clEvENKUlvE0_clEvEUlfE_EEvSA_T1_T2_EUlP25hiprandStatePhilox4_32_10E0_ZNS1_27distribution_nullary_kernelIff15HIP_vector_typeIfLj4EES7_SJ_SE_EEvSA_SG_RKT3_T4_EUlifE0_EEvlNS_15PhiloxCudaStateESF_SG_,"axG",@progbits,_ZN2at6native12_GLOBAL__N_143distribution_elementwise_grid_stride_kernelIfLi4EZNS0_9templates4cuda21uniform_and_transformIffPNS_17CUDAGeneratorImplEZZZNS4_13cauchy_kernelIS7_EEvRNS_18TensorIteratorBaseEddT_ENKUlvE_clEvENKUlvE0_clEvEUlfE_EEvSA_T1_T2_EUlP25hiprandStatePhilox4_32_10E0_ZNS1_27distribution_nullary_kernelIff15HIP_vector_typeIfLj4EES7_SJ_SE_EEvSA_SG_RKT3_T4_EUlifE0_EEvlNS_15PhiloxCudaStateESF_SG_,comdat
.Lfunc_end7:
	.size	_ZN2at6native12_GLOBAL__N_143distribution_elementwise_grid_stride_kernelIfLi4EZNS0_9templates4cuda21uniform_and_transformIffPNS_17CUDAGeneratorImplEZZZNS4_13cauchy_kernelIS7_EEvRNS_18TensorIteratorBaseEddT_ENKUlvE_clEvENKUlvE0_clEvEUlfE_EEvSA_T1_T2_EUlP25hiprandStatePhilox4_32_10E0_ZNS1_27distribution_nullary_kernelIff15HIP_vector_typeIfLj4EES7_SJ_SE_EEvSA_SG_RKT3_T4_EUlifE0_EEvlNS_15PhiloxCudaStateESF_SG_, .Lfunc_end7-_ZN2at6native12_GLOBAL__N_143distribution_elementwise_grid_stride_kernelIfLi4EZNS0_9templates4cuda21uniform_and_transformIffPNS_17CUDAGeneratorImplEZZZNS4_13cauchy_kernelIS7_EEvRNS_18TensorIteratorBaseEddT_ENKUlvE_clEvENKUlvE0_clEvEUlfE_EEvSA_T1_T2_EUlP25hiprandStatePhilox4_32_10E0_ZNS1_27distribution_nullary_kernelIff15HIP_vector_typeIfLj4EES7_SJ_SE_EEvSA_SG_RKT3_T4_EUlifE0_EEvlNS_15PhiloxCudaStateESF_SG_
                                        ; -- End function
	.section	.AMDGPU.csdata,"",@progbits
; Kernel info:
; codeLenInByte = 7656
; NumSgprs: 87
; NumVgprs: 62
; NumAgprs: 0
; TotalNumVgprs: 62
; ScratchSize: 0
; MemoryBound: 0
; FloatMode: 240
; IeeeMode: 1
; LDSByteSize: 0 bytes/workgroup (compile time only)
; SGPRBlocks: 10
; VGPRBlocks: 7
; NumSGPRsForWavesPerEU: 87
; NumVGPRsForWavesPerEU: 62
; AccumOffset: 64
; Occupancy: 8
; WaveLimiterHint : 1
; COMPUTE_PGM_RSRC2:SCRATCH_EN: 0
; COMPUTE_PGM_RSRC2:USER_SGPR: 6
; COMPUTE_PGM_RSRC2:TRAP_HANDLER: 0
; COMPUTE_PGM_RSRC2:TGID_X_EN: 1
; COMPUTE_PGM_RSRC2:TGID_Y_EN: 0
; COMPUTE_PGM_RSRC2:TGID_Z_EN: 0
; COMPUTE_PGM_RSRC2:TIDIG_COMP_CNT: 0
; COMPUTE_PGM_RSRC3_GFX90A:ACCUM_OFFSET: 15
; COMPUTE_PGM_RSRC3_GFX90A:TG_SPLIT: 0
	.section	.text._ZN2at6native12_GLOBAL__N_143distribution_elementwise_grid_stride_kernelIfLi4EZNS0_9templates4cuda21uniform_and_transformIN3c104HalfEfPNS_17CUDAGeneratorImplEZZZNS4_13cauchy_kernelIS9_EEvRNS_18TensorIteratorBaseEddT_ENKUlvE_clEvENKUlvE1_clEvEUlfE_EEvSC_T1_T2_EUlP25hiprandStatePhilox4_32_10E_ZNS1_27distribution_nullary_kernelIS7_f15HIP_vector_typeIdLj2EES9_SL_SG_EEvSC_SI_RKT3_T4_EUlifE_EEvlNS_15PhiloxCudaStateESH_SI_,"axG",@progbits,_ZN2at6native12_GLOBAL__N_143distribution_elementwise_grid_stride_kernelIfLi4EZNS0_9templates4cuda21uniform_and_transformIN3c104HalfEfPNS_17CUDAGeneratorImplEZZZNS4_13cauchy_kernelIS9_EEvRNS_18TensorIteratorBaseEddT_ENKUlvE_clEvENKUlvE1_clEvEUlfE_EEvSC_T1_T2_EUlP25hiprandStatePhilox4_32_10E_ZNS1_27distribution_nullary_kernelIS7_f15HIP_vector_typeIdLj2EES9_SL_SG_EEvSC_SI_RKT3_T4_EUlifE_EEvlNS_15PhiloxCudaStateESH_SI_,comdat
	.globl	_ZN2at6native12_GLOBAL__N_143distribution_elementwise_grid_stride_kernelIfLi4EZNS0_9templates4cuda21uniform_and_transformIN3c104HalfEfPNS_17CUDAGeneratorImplEZZZNS4_13cauchy_kernelIS9_EEvRNS_18TensorIteratorBaseEddT_ENKUlvE_clEvENKUlvE1_clEvEUlfE_EEvSC_T1_T2_EUlP25hiprandStatePhilox4_32_10E_ZNS1_27distribution_nullary_kernelIS7_f15HIP_vector_typeIdLj2EES9_SL_SG_EEvSC_SI_RKT3_T4_EUlifE_EEvlNS_15PhiloxCudaStateESH_SI_ ; -- Begin function _ZN2at6native12_GLOBAL__N_143distribution_elementwise_grid_stride_kernelIfLi4EZNS0_9templates4cuda21uniform_and_transformIN3c104HalfEfPNS_17CUDAGeneratorImplEZZZNS4_13cauchy_kernelIS9_EEvRNS_18TensorIteratorBaseEddT_ENKUlvE_clEvENKUlvE1_clEvEUlfE_EEvSC_T1_T2_EUlP25hiprandStatePhilox4_32_10E_ZNS1_27distribution_nullary_kernelIS7_f15HIP_vector_typeIdLj2EES9_SL_SG_EEvSC_SI_RKT3_T4_EUlifE_EEvlNS_15PhiloxCudaStateESH_SI_
	.p2align	8
	.type	_ZN2at6native12_GLOBAL__N_143distribution_elementwise_grid_stride_kernelIfLi4EZNS0_9templates4cuda21uniform_and_transformIN3c104HalfEfPNS_17CUDAGeneratorImplEZZZNS4_13cauchy_kernelIS9_EEvRNS_18TensorIteratorBaseEddT_ENKUlvE_clEvENKUlvE1_clEvEUlfE_EEvSC_T1_T2_EUlP25hiprandStatePhilox4_32_10E_ZNS1_27distribution_nullary_kernelIS7_f15HIP_vector_typeIdLj2EES9_SL_SG_EEvSC_SI_RKT3_T4_EUlifE_EEvlNS_15PhiloxCudaStateESH_SI_,@function
_ZN2at6native12_GLOBAL__N_143distribution_elementwise_grid_stride_kernelIfLi4EZNS0_9templates4cuda21uniform_and_transformIN3c104HalfEfPNS_17CUDAGeneratorImplEZZZNS4_13cauchy_kernelIS9_EEvRNS_18TensorIteratorBaseEddT_ENKUlvE_clEvENKUlvE1_clEvEUlfE_EEvSC_T1_T2_EUlP25hiprandStatePhilox4_32_10E_ZNS1_27distribution_nullary_kernelIS7_f15HIP_vector_typeIdLj2EES9_SL_SG_EEvSC_SI_RKT3_T4_EUlifE_EEvlNS_15PhiloxCudaStateESH_SI_: ; @_ZN2at6native12_GLOBAL__N_143distribution_elementwise_grid_stride_kernelIfLi4EZNS0_9templates4cuda21uniform_and_transformIN3c104HalfEfPNS_17CUDAGeneratorImplEZZZNS4_13cauchy_kernelIS9_EEvRNS_18TensorIteratorBaseEddT_ENKUlvE_clEvENKUlvE1_clEvEUlfE_EEvSC_T1_T2_EUlP25hiprandStatePhilox4_32_10E_ZNS1_27distribution_nullary_kernelIS7_f15HIP_vector_typeIdLj2EES9_SL_SG_EEvSC_SI_RKT3_T4_EUlifE_EEvlNS_15PhiloxCudaStateESH_SI_
; %bb.0:
	s_load_dword s2, s[4:5], 0x20
	s_load_dwordx2 s[0:1], s[4:5], 0x10
	s_load_dwordx4 s[8:11], s[4:5], 0x0
	s_waitcnt lgkmcnt(0)
	s_bitcmp0_b32 s2, 0
	s_mov_b32 s2, 0
	v_pk_mov_b32 v[2:3], s[0:1], s[0:1] op_sel:[0,1]
	v_pk_mov_b32 v[12:13], s[10:11], s[10:11] op_sel:[0,1]
	s_cbranch_scc1 .LBB8_2
; %bb.1:
	v_pk_mov_b32 v[2:3], s[0:1], s[0:1] op_sel:[0,1]
	flat_load_dwordx2 v[2:3], v[2:3]
	v_pk_mov_b32 v[4:5], s[10:11], s[10:11] op_sel:[0,1]
	flat_load_dwordx2 v[12:13], v[4:5]
	s_load_dwordx2 s[0:1], s[4:5], 0x18
	s_waitcnt lgkmcnt(0)
	v_mov_b32_e32 v1, s1
	s_waitcnt vmcnt(0)
	v_add_co_u32_e32 v2, vcc, s0, v2
	v_addc_co_u32_e32 v3, vcc, v3, v1, vcc
.LBB8_2:
	s_load_dword s0, s[4:5], 0x54
	s_load_dword s18, s[4:5], 0x48
	s_waitcnt lgkmcnt(0)
	s_and_b32 s7, s0, 0xffff
	s_add_u32 s10, s8, -1
	s_mul_i32 s22, s18, s7
	s_addc_u32 s3, s9, -1
	s_lshl_b32 s23, s22, 2
	s_cmp_lg_u64 s[2:3], 0
	s_mov_b64 s[0:1], -1
	s_cbranch_scc0 .LBB8_31
; %bb.3:
	v_cvt_f32_u32_e32 v1, s23
	v_cvt_f32_ubyte0_e32 v4, 0
	s_sub_u32 s2, 0, s23
	s_subb_u32 s11, 0, 0
	v_madmk_f32 v1, v4, 0x4f800000, v1
	v_rcp_f32_e32 v1, v1
	v_mul_f32_e32 v1, 0x5f7ffffc, v1
	v_mul_f32_e32 v4, 0x2f800000, v1
	v_trunc_f32_e32 v4, v4
	v_madmk_f32 v1, v4, 0xcf800000, v1
	v_cvt_u32_f32_e32 v4, v4
	v_cvt_u32_f32_e32 v1, v1
	v_readfirstlane_b32 s12, v4
	v_readfirstlane_b32 s13, v1
	s_mul_i32 s14, s2, s12
	s_mul_hi_u32 s16, s2, s13
	s_mul_i32 s15, s11, s13
	s_add_i32 s14, s16, s14
	s_add_i32 s14, s14, s15
	s_mul_i32 s17, s2, s13
	s_mul_hi_u32 s15, s13, s14
	s_mul_i32 s16, s13, s14
	s_mul_hi_u32 s13, s13, s17
	s_add_u32 s13, s13, s16
	s_addc_u32 s15, 0, s15
	s_mul_hi_u32 s19, s12, s17
	s_mul_i32 s17, s12, s17
	s_add_u32 s13, s13, s17
	s_mul_hi_u32 s16, s12, s14
	s_addc_u32 s13, s15, s19
	s_addc_u32 s15, s16, 0
	s_mul_i32 s14, s12, s14
	s_add_u32 s13, s13, s14
	s_addc_u32 s14, 0, s15
	v_add_co_u32_e32 v1, vcc, s13, v1
	s_cmp_lg_u64 vcc, 0
	s_addc_u32 s12, s12, s14
	v_readfirstlane_b32 s14, v1
	s_mul_i32 s13, s2, s12
	s_mul_hi_u32 s15, s2, s14
	s_add_i32 s13, s15, s13
	s_mul_i32 s11, s11, s14
	s_add_i32 s13, s13, s11
	s_mul_i32 s2, s2, s14
	s_mul_hi_u32 s15, s12, s2
	s_mul_i32 s16, s12, s2
	s_mul_i32 s19, s14, s13
	s_mul_hi_u32 s2, s14, s2
	s_mul_hi_u32 s17, s14, s13
	s_add_u32 s2, s2, s19
	s_addc_u32 s14, 0, s17
	s_add_u32 s2, s2, s16
	s_mul_hi_u32 s11, s12, s13
	s_addc_u32 s2, s14, s15
	s_addc_u32 s11, s11, 0
	s_mul_i32 s13, s12, s13
	s_add_u32 s2, s2, s13
	s_addc_u32 s11, 0, s11
	v_add_co_u32_e32 v1, vcc, s2, v1
	s_cmp_lg_u64 vcc, 0
	s_addc_u32 s11, s12, s11
	s_ashr_i32 s12, s3, 31
	s_add_u32 s2, s10, s12
	s_mov_b32 s13, s12
	s_addc_u32 s3, s3, s12
	s_xor_b64 s[2:3], s[2:3], s[12:13]
	v_readfirstlane_b32 s16, v1
	s_mul_i32 s15, s2, s11
	s_mul_hi_u32 s17, s2, s16
	s_mul_hi_u32 s14, s2, s11
	s_add_u32 s15, s17, s15
	s_addc_u32 s14, 0, s14
	s_mul_hi_u32 s19, s3, s16
	s_mul_i32 s16, s3, s16
	s_add_u32 s15, s15, s16
	s_mul_hi_u32 s17, s3, s11
	s_addc_u32 s14, s14, s19
	s_addc_u32 s15, s17, 0
	s_mul_i32 s11, s3, s11
	s_add_u32 s11, s14, s11
	s_addc_u32 s14, 0, s15
	s_add_u32 s15, s11, 1
	s_addc_u32 s16, s14, 0
	s_add_u32 s17, s11, 2
	s_mul_i32 s20, s23, s14
	s_mul_hi_u32 s21, s23, s11
	s_addc_u32 s19, s14, 0
	s_add_i32 s21, s21, s20
	s_mul_i32 s20, s23, s11
	v_mov_b32_e32 v1, s20
	v_sub_co_u32_e32 v1, vcc, s2, v1
	s_cmp_lg_u64 vcc, 0
	s_subb_u32 s2, s3, s21
	v_subrev_co_u32_e32 v4, vcc, s23, v1
	s_cmp_lg_u64 vcc, 0
	s_subb_u32 s3, s2, 0
	v_readfirstlane_b32 s20, v4
	s_cmp_ge_u32 s20, s23
	s_cselect_b32 s20, -1, 0
	s_cmp_eq_u32 s3, 0
	s_cselect_b32 s3, s20, -1
	s_cmp_lg_u32 s3, 0
	s_cselect_b32 s3, s19, s16
	v_readfirstlane_b32 s16, v1
	s_cselect_b32 s15, s17, s15
	s_cmp_ge_u32 s16, s23
	s_cselect_b32 s16, -1, 0
	s_cmp_eq_u32 s2, 0
	s_cselect_b32 s2, s16, -1
	s_cmp_lg_u32 s2, 0
	s_cselect_b32 s3, s3, s14
	s_cselect_b32 s2, s15, s11
	s_xor_b64 s[2:3], s[2:3], s[12:13]
	s_sub_u32 s2, s2, s12
	s_subb_u32 s3, s3, s12
	s_cbranch_execnz .LBB8_5
.LBB8_4:
	v_cvt_f32_u32_e32 v1, s23
	s_sub_i32 s0, 0, s23
	s_mov_b32 s3, 0
	v_rcp_iflag_f32_e32 v1, v1
	v_mul_f32_e32 v1, 0x4f7ffffe, v1
	v_cvt_u32_f32_e32 v1, v1
	v_readfirstlane_b32 s1, v1
	s_mul_i32 s0, s0, s1
	s_mul_hi_u32 s0, s1, s0
	s_add_i32 s1, s1, s0
	s_mul_hi_u32 s0, s10, s1
	s_mul_i32 s2, s0, s23
	s_sub_i32 s2, s10, s2
	s_add_i32 s1, s0, 1
	s_sub_i32 s10, s2, s23
	s_cmp_ge_u32 s2, s23
	s_cselect_b32 s0, s1, s0
	s_cselect_b32 s2, s10, s2
	s_add_i32 s1, s0, 1
	s_cmp_ge_u32 s2, s23
	s_cselect_b32 s2, s1, s0
.LBB8_5:
	v_mov_b32_e32 v1, 0
	v_mov_b32_e32 v4, s6
	v_mad_u64_u32 v[14:15], s[0:1], s7, v4, v[0:1]
	s_add_u32 s0, s2, 1
	s_addc_u32 s1, s3, 0
	s_mul_hi_u32 s2, s18, s7
	s_mul_i32 s1, s22, s1
	s_mul_hi_u32 s3, s22, s0
	s_add_i32 s1, s3, s1
	s_mul_i32 s2, s2, s0
	s_add_i32 s1, s1, s2
	s_mul_i32 s0, s22, s0
	s_lshl_b64 s[10:11], s[0:1], 2
	v_cmp_gt_i64_e32 vcc, s[10:11], v[14:15]
	s_and_saveexec_b64 s[0:1], vcc
	s_cbranch_execz .LBB8_30
; %bb.6:
	s_mov_b32 s0, 0x5384540f
	v_mov_b32_e32 v4, v13
	v_add_co_u32_e32 v22, vcc, s0, v12
	s_mov_b32 s0, 0x646e171e
	v_add_co_u32_e32 v23, vcc, s0, v4
	s_mov_b32 s0, 0x1715609d
	;; [unrolled: 2-line block ×6, first 2 shown]
	v_alignbit_b32 v29, v3, v2, 2
	s_mov_b32 s24, 0xd2511f53
	v_add_co_u32_e32 v28, vcc, s0, v12
	v_mad_u64_u32 v[6:7], s[0:1], v29, s24, 0
	v_and_b32_e32 v18, 3, v2
	v_xor_b32_e32 v2, v7, v13
	v_xor_b32_e32 v2, v2, v15
	s_mov_b32 s25, 0xcd9e8d57
	v_mad_u64_u32 v[8:9], s[0:1], v2, s25, 0
	v_xor_b32_e32 v2, v28, v9
	v_mad_u64_u32 v[10:11], s[0:1], v14, s25, 0
	v_xor_b32_e32 v2, v2, v10
	;; [unrolled: 2-line block ×3, first 2 shown]
	v_lshrrev_b32_e32 v30, 2, v3
	v_xor_b32_e32 v2, v2, v30
	v_xor_b32_e32 v5, v27, v17
	v_mad_u64_u32 v[2:3], s[0:1], v2, s24, 0
	v_xor_b32_e32 v2, v5, v2
	v_mad_u64_u32 v[10:11], s[0:1], v2, s25, 0
	s_mov_b32 s0, 0xbb67ae85
	v_add_co_u32_e32 v31, vcc, s0, v4
	v_xor_b32_e32 v2, v31, v3
	v_xor_b32_e32 v2, v2, v6
	v_xor_b32_e32 v5, v26, v11
	v_mad_u64_u32 v[2:3], s[0:1], v2, s25, 0
	v_xor_b32_e32 v2, v5, v2
	v_mad_u64_u32 v[6:7], s[0:1], v2, s24, 0
	s_mov_b32 s0, 0x3c6ef372
	v_add_co_u32_e32 v32, vcc, s0, v12
	v_xor_b32_e32 v2, v32, v3
	;; [unrolled: 8-line block ×6, first 2 shown]
	v_add_co_u32_e32 v21, vcc, 0xdb3d7428, v4
	v_xor_b32_e32 v2, v2, v8
	v_xor_b32_e32 v5, v21, v41
	v_mad_u64_u32 v[2:3], s[0:1], v2, s24, 0
	v_xor_b32_e32 v2, v5, v2
	v_mad_u64_u32 v[42:43], s[0:1], v2, s25, 0
	s_mov_b32 s0, 0x1fd5c5a3
	v_add_co_u32_e32 v37, vcc, s0, v4
	v_xor_b32_e32 v2, v37, v3
	v_xor_b32_e32 v2, v2, v16
	v_mad_u64_u32 v[2:3], s[0:1], v2, s25, 0
	s_mov_b32 s0, 0xf1bbcdc8
	v_add_u32_e32 v19, 0x8ff34781, v12
	v_xor_b32_e32 v2, v43, v2
	v_add_co_u32_e32 v38, vcc, s0, v12
	s_load_dwordx4 s[12:15], s[4:5], 0x38
	s_load_dwordx2 s[16:17], s[4:5], 0x30
	v_xor_b32_e32 v6, v19, v2
	v_xor_b32_e32 v2, v38, v3
	;; [unrolled: 1-line block ×3, first 2 shown]
	v_mad_u64_u32 v[2:3], s[0:1], v2, s24, 0
	s_mul_i32 s0, s6, s7
	v_mov_b32_e32 v9, v2
	v_add_u32_e32 v2, s0, v0
	s_waitcnt lgkmcnt(0)
	s_mul_i32 s0, s18, s12
	s_mul_i32 s0, s0, s7
	s_lshl_b32 s26, s0, 2
	s_add_i32 s0, s6, s18
	s_mul_i32 s0, s0, s7
	s_mov_b32 s15, 0
	v_add_u32_e32 v20, 0x96a522ad, v13
	v_xor_b32_e32 v3, v3, v40
	v_add_u32_e32 v0, s0, v0
	v_xor_b32_e32 v8, v20, v3
	v_mov_b32_e32 v7, v42
	v_mul_lo_u32 v39, s12, v2
	v_mul_lo_u32 v40, s12, v0
	s_mov_b64 s[6:7], 0
	s_mov_b32 s12, 0x3f7ffffe
	s_brev_b32 s27, 44
	s_brev_b32 s28, 18
	s_mov_b32 s29, 0xfe5163ab
	s_mov_b32 s30, 0x3c439041
	;; [unrolled: 1-line block ×10, first 2 shown]
	v_mov_b32_e32 v41, 0x3f93f425
	s_movk_i32 s40, 0x1f8
	v_mov_b32_e32 v42, 0x3f7ffffe
	v_bfrev_b32_e32 v43, 44
	v_not_b32_e32 v44, 63
	v_not_b32_e32 v45, 31
	v_mov_b32_e32 v46, 0x7fc00000
	s_mov_b32 s41, s15
	v_mov_b32_e32 v47, v14
	v_mov_b32_e32 v48, v15
	s_branch .LBB8_9
.LBB8_7:                                ;   in Loop: Header=BB8_9 Depth=1
	s_or_b64 exec, exec, s[0:1]
	v_mul_f32_e32 v11, v0, v0
	v_mov_b32_e32 v17, 0xbf039337
	v_fmac_f32_e32 v17, 0x3c971480, v11
	v_fma_f32 v17, v11, v17, v41
	v_add_u32_e32 v8, s41, v40
	v_rcp_f32_e32 v17, v17
	v_ashrrev_i32_e32 v9, 31, v8
	v_mov_b32_e32 v10, s17
	v_add_co_u32_e32 v8, vcc, s16, v8
	v_addc_co_u32_e32 v9, vcc, v10, v9, vcc
	v_mov_b32_e32 v10, 0x3ec54587
	v_fmac_f32_e32 v10, 0xbc8cedd3, v11
	v_mul_f32_e32 v10, v10, v17
	v_mul_f32_e32 v10, v11, v10
	v_fma_f32 v11, v10, v0, v0
	v_rcp_f32_e32 v17, v11
	v_sub_f32_e32 v49, v11, v0
	v_fma_f32 v0, v10, v0, -v49
	v_and_b32_e32 v7, 1, v7
	v_fma_f32 v10, v11, -v17, 1.0
	v_fma_f32 v0, v0, -v17, v10
	v_fma_f32 v0, v0, -v17, -v17
	v_cmp_eq_u32_e32 vcc, 0, v7
	v_cndmask_b32_e32 v0, v0, v11, vcc
	v_xor_b32_e32 v6, v6, v5
	v_xor_b32_e32 v0, v6, v0
	v_cmp_class_f32_e64 vcc, v5, s40
	v_cndmask_b32_e32 v0, v46, v0, vcc
	v_mov_b32_e32 v5, s13
	v_fma_mixlo_f16 v0, s14, v0, v5
	global_store_short v[8:9], v0, off
.LBB8_8:                                ;   in Loop: Header=BB8_9 Depth=1
	s_or_b64 exec, exec, s[18:19]
	v_add_co_u32_e32 v14, vcc, s23, v14
	v_mov_b32_e32 v5, v16
	v_addc_co_u32_e32 v15, vcc, 0, v15, vcc
	s_add_i32 s41, s41, s26
	v_cmp_le_i64_e32 vcc, s[10:11], v[14:15]
	v_pk_mov_b32 v[8:9], v[4:5], v[4:5] op_sel:[0,1]
	s_or_b64 s[6:7], vcc, s[6:7]
	v_pk_mov_b32 v[6:7], v[2:3], v[2:3] op_sel:[0,1]
	s_barrier
	s_andn2_b64 exec, exec, s[6:7]
	s_cbranch_execz .LBB8_30
.LBB8_9:                                ; =>This Inner Loop Header: Depth=1
	v_add_co_u32_e32 v29, vcc, 1, v29
	v_cndmask_b32_e64 v0, 0, 1, vcc
	v_addc_co_u32_e32 v30, vcc, 0, v30, vcc
	v_cmp_eq_u32_e32 vcc, 0, v30
	v_cndmask_b32_e32 v0, 0, v0, vcc
	v_add_u32_e32 v47, v0, v47
	v_cmp_eq_u32_e32 vcc, 0, v47
	v_cndmask_b32_e32 v0, 0, v0, vcc
	v_mad_u64_u32 v[2:3], s[0:1], v29, s24, 0
	v_mad_u64_u32 v[4:5], s[0:1], v47, s25, 0
	v_add_u32_e32 v48, v0, v48
	v_xor_b32_e32 v0, v5, v12
	v_xor_b32_e32 v3, v3, v13
	v_xor_b32_e32 v0, v30, v0
	v_xor_b32_e32 v3, v48, v3
	v_mad_u64_u32 v[10:11], s[0:1], v0, s24, 0
	v_mad_u64_u32 v[16:17], s[0:1], v3, s25, 0
	v_xor_b32_e32 v0, v28, v17
	v_xor_b32_e32 v3, v31, v11
	v_xor_b32_e32 v0, v0, v4
	v_xor_b32_e32 v4, v3, v2
	v_mad_u64_u32 v[2:3], s[0:1], v0, s24, 0
	v_mad_u64_u32 v[4:5], s[0:1], v4, s25, 0
	;; [unrolled: 6-line block ×9, first 2 shown]
	v_xor_b32_e32 v0, v11, v2
	v_xor_b32_e32 v2, v19, v0
	;; [unrolled: 1-line block ×4, first 2 shown]
	v_mov_b32_e32 v3, v10
	v_mov_b32_e32 v4, v11
	v_cmp_lt_i32_e32 vcc, 1, v18
	s_and_saveexec_b64 s[0:1], vcc
	s_xor_b64 s[0:1], exec, s[0:1]
	s_cbranch_execnz .LBB8_12
; %bb.10:                               ;   in Loop: Header=BB8_9 Depth=1
	s_andn2_saveexec_b64 s[0:1], s[0:1]
	s_cbranch_execnz .LBB8_17
.LBB8_11:                               ;   in Loop: Header=BB8_9 Depth=1
	s_or_b64 exec, exec, s[0:1]
	v_cmp_gt_i64_e32 vcc, s[8:9], v[14:15]
	s_and_saveexec_b64 s[18:19], vcc
	s_cbranch_execnz .LBB8_20
	s_branch .LBB8_25
.LBB8_12:                               ;   in Loop: Header=BB8_9 Depth=1
	v_cmp_lt_i32_e32 vcc, 2, v18
	s_and_saveexec_b64 s[2:3], vcc
	s_xor_b64 s[2:3], exec, s[2:3]
; %bb.13:                               ;   in Loop: Header=BB8_9 Depth=1
	v_mov_b32_e32 v8, v9
	v_mov_b32_e32 v9, v2
	v_pk_mov_b32 v[6:7], v[8:9], v[8:9] op_sel:[0,1]
	v_pk_mov_b32 v[8:9], v[10:11], v[10:11] op_sel:[0,1]
                                        ; implicit-def: $vgpr10_vgpr11
; %bb.14:                               ;   in Loop: Header=BB8_9 Depth=1
	s_andn2_saveexec_b64 s[2:3], s[2:3]
; %bb.15:                               ;   in Loop: Header=BB8_9 Depth=1
	v_mov_b32_e32 v6, v8
	v_mov_b32_e32 v7, v9
	;; [unrolled: 1-line block ×4, first 2 shown]
; %bb.16:                               ;   in Loop: Header=BB8_9 Depth=1
	s_or_b64 exec, exec, s[2:3]
	s_andn2_saveexec_b64 s[0:1], s[0:1]
	s_cbranch_execz .LBB8_11
.LBB8_17:                               ;   in Loop: Header=BB8_9 Depth=1
	v_cmp_eq_u32_e32 vcc, 1, v18
	s_and_saveexec_b64 s[2:3], vcc
; %bb.18:                               ;   in Loop: Header=BB8_9 Depth=1
	v_mov_b32_e32 v6, v7
	v_mov_b32_e32 v7, v8
	;; [unrolled: 1-line block ×4, first 2 shown]
; %bb.19:                               ;   in Loop: Header=BB8_9 Depth=1
	s_or_b64 exec, exec, s[2:3]
	s_or_b64 exec, exec, s[0:1]
	v_cmp_gt_i64_e32 vcc, s[8:9], v[14:15]
	s_and_saveexec_b64 s[18:19], vcc
	s_cbranch_execz .LBB8_25
.LBB8_20:                               ;   in Loop: Header=BB8_9 Depth=1
	v_lshrrev_b32_e32 v0, 11, v7
	v_cvt_f64_u32_e32 v[10:11], v0
	v_ldexp_f64 v[10:11], v[10:11], 32
	v_cvt_f64_u32_e32 v[6:7], v6
	v_add_f64 v[6:7], v[10:11], v[6:7]
	v_mov_b32_e32 v10, 0
	v_mov_b32_e32 v11, 0x3ca00000
	v_fmac_f64_e32 v[10:11], 0x3ca00000, v[6:7]
	v_cvt_f32_f64_e32 v0, v[10:11]
	v_cmp_nlt_f32_e32 vcc, s12, v0
	v_cndmask_b32_e32 v0, v42, v0, vcc
	v_cmp_ngt_f32_e32 vcc, s27, v0
	v_cndmask_b32_e32 v0, v43, v0, vcc
	v_add_f32_e32 v0, -0.5, v0
	v_mul_f32_e32 v5, 0x40490fdb, v0
	v_and_b32_e32 v6, 0x7fffffff, v5
	v_cmp_nlt_f32_e64 s[0:1], |v5|, s28
                                        ; implicit-def: $vgpr7
                                        ; implicit-def: $vgpr0
	s_and_saveexec_b64 s[2:3], s[0:1]
	s_xor_b64 s[20:21], exec, s[2:3]
	s_cbranch_execz .LBB8_22
; %bb.21:                               ;   in Loop: Header=BB8_9 Depth=1
	v_lshrrev_b32_e32 v0, 23, v6
	v_add_u32_e32 v0, 0xffffff88, v0
	v_cmp_lt_u32_e32 vcc, 63, v0
	v_cndmask_b32_e32 v7, 0, v44, vcc
	v_add_u32_e32 v0, v7, v0
	v_cmp_lt_u32_e64 s[0:1], 31, v0
	v_cndmask_b32_e64 v7, 0, v45, s[0:1]
	v_add_u32_e32 v0, v7, v0
	v_cmp_lt_u32_e64 s[2:3], 31, v0
	v_cndmask_b32_e64 v7, 0, v45, s[2:3]
	v_add_u32_e32 v7, v7, v0
	v_and_b32_e32 v0, 0x7fffff, v6
	v_or_b32_e32 v17, 0x800000, v0
	v_mad_u64_u32 v[10:11], s[4:5], v17, s29, 0
	v_mov_b32_e32 v0, v11
	v_mad_u64_u32 v[50:51], s[4:5], v17, s30, v[0:1]
	v_mov_b32_e32 v0, v51
	;; [unrolled: 2-line block ×6, first 2 shown]
	v_mad_u64_u32 v[60:61], s[4:5], v17, s36, v[0:1]
	v_cndmask_b32_e32 v11, v58, v54, vcc
	v_cndmask_b32_e32 v0, v60, v56, vcc
	v_cndmask_b32_e32 v49, v61, v58, vcc
	v_cndmask_b32_e64 v17, v0, v11, s[0:1]
	v_cndmask_b32_e64 v0, v49, v0, s[0:1]
	v_cndmask_b32_e32 v49, v56, v52, vcc
	v_cndmask_b32_e64 v11, v11, v49, s[0:1]
	v_cndmask_b32_e64 v0, v0, v17, s[2:3]
	v_cndmask_b32_e64 v17, v17, v11, s[2:3]
	v_sub_u32_e32 v51, 32, v7
	v_alignbit_b32 v53, v0, v17, v51
	v_cmp_eq_u32_e64 s[4:5], 0, v7
	v_cndmask_b32_e64 v7, v53, v0, s[4:5]
	v_cndmask_b32_e32 v0, v54, v50, vcc
	v_cndmask_b32_e64 v49, v49, v0, s[0:1]
	v_cndmask_b32_e64 v11, v11, v49, s[2:3]
	v_cndmask_b32_e32 v10, v52, v10, vcc
	v_alignbit_b32 v50, v17, v11, v51
	v_cndmask_b32_e64 v0, v0, v10, s[0:1]
	v_cndmask_b32_e64 v17, v50, v17, s[4:5]
	v_bfe_u32 v54, v7, 29, 1
	v_cndmask_b32_e64 v0, v49, v0, s[2:3]
	v_alignbit_b32 v50, v7, v17, 30
	v_sub_u32_e32 v55, 0, v54
	v_alignbit_b32 v10, v11, v0, v51
	v_xor_b32_e32 v56, v50, v55
	v_cndmask_b32_e64 v10, v10, v11, s[4:5]
	v_alignbit_b32 v11, v17, v10, 30
	v_ffbh_u32_e32 v17, v56
	v_add_u32_e32 v17, 1, v17
	v_cmp_ne_u32_e32 vcc, v50, v55
	v_cndmask_b32_e32 v17, 33, v17, vcc
	v_alignbit_b32 v0, v10, v0, 30
	v_xor_b32_e32 v11, v11, v55
	v_sub_u32_e32 v49, 32, v17
	v_xor_b32_e32 v0, v0, v55
	v_alignbit_b32 v50, v56, v11, v49
	v_alignbit_b32 v0, v11, v0, v49
	v_alignbit_b32 v10, v50, v0, 9
	v_ffbh_u32_e32 v11, v10
	v_min_u32_e32 v11, 32, v11
	v_lshrrev_b32_e32 v53, 29, v7
	v_sub_u32_e32 v49, 31, v11
	v_alignbit_b32 v0, v10, v0, v49
	v_lshlrev_b32_e32 v10, 31, v53
	v_or_b32_e32 v49, 0x33800000, v10
	v_add_lshl_u32 v11, v11, v17, 23
	v_lshrrev_b32_e32 v0, 9, v0
	v_sub_u32_e32 v11, v49, v11
	v_or_b32_e32 v0, v11, v0
	v_alignbit_b32 v11, v17, v50, 9
	v_or_b32_e32 v10, v11, v10
	v_xor_b32_e32 v10, 1.0, v10
	v_mul_f32_e32 v11, 0x3fc90fda, v10
	v_fma_f32 v17, v10, s37, -v11
	v_fmac_f32_e32 v17, 0x33a22168, v10
	v_fmac_f32_e32 v17, 0x3fc90fda, v0
	v_lshrrev_b32_e32 v7, 30, v7
	v_add_f32_e32 v0, v11, v17
	v_add_u32_e32 v7, v54, v7
.LBB8_22:                               ;   in Loop: Header=BB8_9 Depth=1
	s_andn2_saveexec_b64 s[0:1], s[20:21]
; %bb.23:                               ;   in Loop: Header=BB8_9 Depth=1
	v_mul_f32_e64 v0, |v5|, s38
	v_rndne_f32_e32 v10, v0
	v_cvt_i32_f32_e32 v7, v10
	v_fma_f32 v0, v10, s39, |v5|
	v_fmac_f32_e32 v0, 0xb3a22168, v10
	v_fmac_f32_e32 v0, 0xa7c234c4, v10
; %bb.24:                               ;   in Loop: Header=BB8_9 Depth=1
	s_or_b64 exec, exec, s[0:1]
	v_mul_f32_e32 v49, v0, v0
	v_mov_b32_e32 v50, 0xbf039337
	v_fmac_f32_e32 v50, 0x3c971480, v49
	v_fma_f32 v50, v49, v50, v41
	v_add_u32_e32 v10, s41, v39
	v_rcp_f32_e32 v50, v50
	v_ashrrev_i32_e32 v11, 31, v10
	v_mov_b32_e32 v17, s17
	v_add_co_u32_e32 v10, vcc, s16, v10
	v_addc_co_u32_e32 v11, vcc, v17, v11, vcc
	v_mov_b32_e32 v17, 0x3ec54587
	v_fmac_f32_e32 v17, 0xbc8cedd3, v49
	v_mul_f32_e32 v17, v17, v50
	v_mul_f32_e32 v17, v49, v17
	v_fma_f32 v49, v17, v0, v0
	v_rcp_f32_e32 v50, v49
	v_sub_f32_e32 v51, v49, v0
	v_fma_f32 v0, v17, v0, -v51
	v_and_b32_e32 v7, 1, v7
	v_fma_f32 v17, v49, -v50, 1.0
	v_fma_f32 v0, v0, -v50, v17
	v_fma_f32 v0, v0, -v50, -v50
	v_cmp_eq_u32_e32 vcc, 0, v7
	v_cndmask_b32_e32 v0, v0, v49, vcc
	v_xor_b32_e32 v6, v6, v5
	v_xor_b32_e32 v0, v6, v0
	v_cmp_class_f32_e64 vcc, v5, s40
	v_cndmask_b32_e32 v0, v46, v0, vcc
	v_mov_b32_e32 v5, s13
	v_fma_mixlo_f16 v0, s14, v0, v5
	global_store_short v[10:11], v0, off
.LBB8_25:                               ;   in Loop: Header=BB8_9 Depth=1
	s_or_b64 exec, exec, s[18:19]
	v_mov_b32_e32 v0, s15
	v_add_co_u32_e32 v6, vcc, s22, v14
	v_addc_co_u32_e32 v7, vcc, v0, v15, vcc
	v_cmp_gt_i64_e32 vcc, s[8:9], v[6:7]
	s_and_saveexec_b64 s[18:19], vcc
	s_cbranch_execz .LBB8_8
; %bb.26:                               ;   in Loop: Header=BB8_9 Depth=1
	v_lshrrev_b32_e32 v0, 11, v9
	v_cvt_f64_u32_e32 v[6:7], v0
	v_ldexp_f64 v[6:7], v[6:7], 32
	v_cvt_f64_u32_e32 v[8:9], v8
	v_add_f64 v[6:7], v[6:7], v[8:9]
	v_mov_b32_e32 v8, 0
	v_mov_b32_e32 v9, 0x3ca00000
	v_fmac_f64_e32 v[8:9], 0x3ca00000, v[6:7]
	v_cvt_f32_f64_e32 v0, v[8:9]
	v_cmp_nlt_f32_e32 vcc, s12, v0
	v_cndmask_b32_e32 v0, v42, v0, vcc
	v_cmp_ngt_f32_e32 vcc, s27, v0
	v_cndmask_b32_e32 v0, v43, v0, vcc
	v_add_f32_e32 v0, -0.5, v0
	v_mul_f32_e32 v5, 0x40490fdb, v0
	v_and_b32_e32 v6, 0x7fffffff, v5
	v_cmp_nlt_f32_e64 s[0:1], |v5|, s28
                                        ; implicit-def: $vgpr7
                                        ; implicit-def: $vgpr0
	s_and_saveexec_b64 s[2:3], s[0:1]
	s_xor_b64 s[20:21], exec, s[2:3]
	s_cbranch_execz .LBB8_28
; %bb.27:                               ;   in Loop: Header=BB8_9 Depth=1
	v_lshrrev_b32_e32 v0, 23, v6
	v_add_u32_e32 v0, 0xffffff88, v0
	v_cmp_lt_u32_e32 vcc, 63, v0
	v_cndmask_b32_e32 v7, 0, v44, vcc
	v_add_u32_e32 v0, v7, v0
	v_cmp_lt_u32_e64 s[0:1], 31, v0
	v_cndmask_b32_e64 v7, 0, v45, s[0:1]
	v_add_u32_e32 v0, v7, v0
	v_cmp_lt_u32_e64 s[2:3], 31, v0
	v_cndmask_b32_e64 v7, 0, v45, s[2:3]
	v_add_u32_e32 v7, v7, v0
	v_and_b32_e32 v0, 0x7fffff, v6
	v_or_b32_e32 v17, 0x800000, v0
	v_mad_u64_u32 v[8:9], s[4:5], v17, s29, 0
	v_mov_b32_e32 v0, v9
	v_mad_u64_u32 v[10:11], s[4:5], v17, s30, v[0:1]
	v_mov_b32_e32 v0, v11
	;; [unrolled: 2-line block ×6, first 2 shown]
	v_mad_u64_u32 v[58:59], s[4:5], v17, s36, v[0:1]
	v_cndmask_b32_e32 v9, v56, v52, vcc
	v_cndmask_b32_e32 v0, v58, v54, vcc
	v_cndmask_b32_e32 v17, v59, v56, vcc
	v_cndmask_b32_e64 v11, v0, v9, s[0:1]
	v_cndmask_b32_e64 v0, v17, v0, s[0:1]
	v_cndmask_b32_e32 v17, v54, v50, vcc
	v_cndmask_b32_e64 v9, v9, v17, s[0:1]
	v_cndmask_b32_e64 v0, v0, v11, s[2:3]
	;; [unrolled: 1-line block ×3, first 2 shown]
	v_sub_u32_e32 v49, 32, v7
	v_alignbit_b32 v51, v0, v11, v49
	v_cmp_eq_u32_e64 s[4:5], 0, v7
	v_cndmask_b32_e64 v7, v51, v0, s[4:5]
	v_cndmask_b32_e32 v0, v52, v10, vcc
	v_cndmask_b32_e64 v10, v17, v0, s[0:1]
	v_cndmask_b32_e64 v9, v9, v10, s[2:3]
	v_alignbit_b32 v17, v11, v9, v49
	v_cndmask_b32_e64 v11, v17, v11, s[4:5]
	v_bfe_u32 v52, v7, 29, 1
	v_cndmask_b32_e32 v8, v50, v8, vcc
	v_alignbit_b32 v17, v7, v11, 30
	v_sub_u32_e32 v53, 0, v52
	v_cndmask_b32_e64 v0, v0, v8, s[0:1]
	v_xor_b32_e32 v54, v17, v53
	v_cndmask_b32_e64 v0, v10, v0, s[2:3]
	v_alignbit_b32 v8, v9, v0, v49
	v_ffbh_u32_e32 v10, v54
	v_cndmask_b32_e64 v8, v8, v9, s[4:5]
	v_add_u32_e32 v10, 1, v10
	v_cmp_ne_u32_e32 vcc, v17, v53
	v_alignbit_b32 v9, v11, v8, 30
	v_cndmask_b32_e32 v10, 33, v10, vcc
	v_alignbit_b32 v0, v8, v0, 30
	v_xor_b32_e32 v9, v9, v53
	v_sub_u32_e32 v11, 32, v10
	v_xor_b32_e32 v0, v0, v53
	v_alignbit_b32 v17, v54, v9, v11
	v_alignbit_b32 v0, v9, v0, v11
	;; [unrolled: 1-line block ×3, first 2 shown]
	v_ffbh_u32_e32 v9, v8
	v_min_u32_e32 v9, 32, v9
	v_lshrrev_b32_e32 v51, 29, v7
	v_sub_u32_e32 v11, 31, v9
	v_alignbit_b32 v0, v8, v0, v11
	v_lshlrev_b32_e32 v8, 31, v51
	v_or_b32_e32 v11, 0x33800000, v8
	v_add_lshl_u32 v9, v9, v10, 23
	v_lshrrev_b32_e32 v0, 9, v0
	v_sub_u32_e32 v9, v11, v9
	v_or_b32_e32 v0, v9, v0
	v_alignbit_b32 v9, v10, v17, 9
	v_or_b32_e32 v8, v9, v8
	v_xor_b32_e32 v8, 1.0, v8
	v_mul_f32_e32 v9, 0x3fc90fda, v8
	v_fma_f32 v10, v8, s37, -v9
	v_fmac_f32_e32 v10, 0x33a22168, v8
	v_fmac_f32_e32 v10, 0x3fc90fda, v0
	v_lshrrev_b32_e32 v7, 30, v7
	v_add_f32_e32 v0, v9, v10
	v_add_u32_e32 v7, v52, v7
.LBB8_28:                               ;   in Loop: Header=BB8_9 Depth=1
	s_andn2_saveexec_b64 s[0:1], s[20:21]
	s_cbranch_execz .LBB8_7
; %bb.29:                               ;   in Loop: Header=BB8_9 Depth=1
	v_mul_f32_e64 v0, |v5|, s38
	v_rndne_f32_e32 v8, v0
	v_cvt_i32_f32_e32 v7, v8
	v_fma_f32 v0, v8, s39, |v5|
	v_fmac_f32_e32 v0, 0xb3a22168, v8
	v_fmac_f32_e32 v0, 0xa7c234c4, v8
	s_branch .LBB8_7
.LBB8_30:
	s_endpgm
.LBB8_31:
                                        ; implicit-def: $sgpr2_sgpr3
	s_andn2_b64 vcc, exec, s[0:1]
	s_cbranch_vccz .LBB8_4
	s_branch .LBB8_5
	.section	.rodata,"a",@progbits
	.p2align	6, 0x0
	.amdhsa_kernel _ZN2at6native12_GLOBAL__N_143distribution_elementwise_grid_stride_kernelIfLi4EZNS0_9templates4cuda21uniform_and_transformIN3c104HalfEfPNS_17CUDAGeneratorImplEZZZNS4_13cauchy_kernelIS9_EEvRNS_18TensorIteratorBaseEddT_ENKUlvE_clEvENKUlvE1_clEvEUlfE_EEvSC_T1_T2_EUlP25hiprandStatePhilox4_32_10E_ZNS1_27distribution_nullary_kernelIS7_f15HIP_vector_typeIdLj2EES9_SL_SG_EEvSC_SI_RKT3_T4_EUlifE_EEvlNS_15PhiloxCudaStateESH_SI_
		.amdhsa_group_segment_fixed_size 0
		.amdhsa_private_segment_fixed_size 0
		.amdhsa_kernarg_size 328
		.amdhsa_user_sgpr_count 6
		.amdhsa_user_sgpr_private_segment_buffer 1
		.amdhsa_user_sgpr_dispatch_ptr 0
		.amdhsa_user_sgpr_queue_ptr 0
		.amdhsa_user_sgpr_kernarg_segment_ptr 1
		.amdhsa_user_sgpr_dispatch_id 0
		.amdhsa_user_sgpr_flat_scratch_init 0
		.amdhsa_user_sgpr_kernarg_preload_length 0
		.amdhsa_user_sgpr_kernarg_preload_offset 0
		.amdhsa_user_sgpr_private_segment_size 0
		.amdhsa_uses_dynamic_stack 0
		.amdhsa_system_sgpr_private_segment_wavefront_offset 0
		.amdhsa_system_sgpr_workgroup_id_x 1
		.amdhsa_system_sgpr_workgroup_id_y 0
		.amdhsa_system_sgpr_workgroup_id_z 0
		.amdhsa_system_sgpr_workgroup_info 0
		.amdhsa_system_vgpr_workitem_id 0
		.amdhsa_next_free_vgpr 62
		.amdhsa_next_free_sgpr 42
		.amdhsa_accum_offset 64
		.amdhsa_reserve_vcc 1
		.amdhsa_reserve_flat_scratch 0
		.amdhsa_float_round_mode_32 0
		.amdhsa_float_round_mode_16_64 0
		.amdhsa_float_denorm_mode_32 3
		.amdhsa_float_denorm_mode_16_64 3
		.amdhsa_dx10_clamp 1
		.amdhsa_ieee_mode 1
		.amdhsa_fp16_overflow 0
		.amdhsa_tg_split 0
		.amdhsa_exception_fp_ieee_invalid_op 0
		.amdhsa_exception_fp_denorm_src 0
		.amdhsa_exception_fp_ieee_div_zero 0
		.amdhsa_exception_fp_ieee_overflow 0
		.amdhsa_exception_fp_ieee_underflow 0
		.amdhsa_exception_fp_ieee_inexact 0
		.amdhsa_exception_int_div_zero 0
	.end_amdhsa_kernel
	.section	.text._ZN2at6native12_GLOBAL__N_143distribution_elementwise_grid_stride_kernelIfLi4EZNS0_9templates4cuda21uniform_and_transformIN3c104HalfEfPNS_17CUDAGeneratorImplEZZZNS4_13cauchy_kernelIS9_EEvRNS_18TensorIteratorBaseEddT_ENKUlvE_clEvENKUlvE1_clEvEUlfE_EEvSC_T1_T2_EUlP25hiprandStatePhilox4_32_10E_ZNS1_27distribution_nullary_kernelIS7_f15HIP_vector_typeIdLj2EES9_SL_SG_EEvSC_SI_RKT3_T4_EUlifE_EEvlNS_15PhiloxCudaStateESH_SI_,"axG",@progbits,_ZN2at6native12_GLOBAL__N_143distribution_elementwise_grid_stride_kernelIfLi4EZNS0_9templates4cuda21uniform_and_transformIN3c104HalfEfPNS_17CUDAGeneratorImplEZZZNS4_13cauchy_kernelIS9_EEvRNS_18TensorIteratorBaseEddT_ENKUlvE_clEvENKUlvE1_clEvEUlfE_EEvSC_T1_T2_EUlP25hiprandStatePhilox4_32_10E_ZNS1_27distribution_nullary_kernelIS7_f15HIP_vector_typeIdLj2EES9_SL_SG_EEvSC_SI_RKT3_T4_EUlifE_EEvlNS_15PhiloxCudaStateESH_SI_,comdat
.Lfunc_end8:
	.size	_ZN2at6native12_GLOBAL__N_143distribution_elementwise_grid_stride_kernelIfLi4EZNS0_9templates4cuda21uniform_and_transformIN3c104HalfEfPNS_17CUDAGeneratorImplEZZZNS4_13cauchy_kernelIS9_EEvRNS_18TensorIteratorBaseEddT_ENKUlvE_clEvENKUlvE1_clEvEUlfE_EEvSC_T1_T2_EUlP25hiprandStatePhilox4_32_10E_ZNS1_27distribution_nullary_kernelIS7_f15HIP_vector_typeIdLj2EES9_SL_SG_EEvSC_SI_RKT3_T4_EUlifE_EEvlNS_15PhiloxCudaStateESH_SI_, .Lfunc_end8-_ZN2at6native12_GLOBAL__N_143distribution_elementwise_grid_stride_kernelIfLi4EZNS0_9templates4cuda21uniform_and_transformIN3c104HalfEfPNS_17CUDAGeneratorImplEZZZNS4_13cauchy_kernelIS9_EEvRNS_18TensorIteratorBaseEddT_ENKUlvE_clEvENKUlvE1_clEvEUlfE_EEvSC_T1_T2_EUlP25hiprandStatePhilox4_32_10E_ZNS1_27distribution_nullary_kernelIS7_f15HIP_vector_typeIdLj2EES9_SL_SG_EEvSC_SI_RKT3_T4_EUlifE_EEvlNS_15PhiloxCudaStateESH_SI_
                                        ; -- End function
	.section	.AMDGPU.csdata,"",@progbits
; Kernel info:
; codeLenInByte = 3956
; NumSgprs: 46
; NumVgprs: 62
; NumAgprs: 0
; TotalNumVgprs: 62
; ScratchSize: 0
; MemoryBound: 0
; FloatMode: 240
; IeeeMode: 1
; LDSByteSize: 0 bytes/workgroup (compile time only)
; SGPRBlocks: 5
; VGPRBlocks: 7
; NumSGPRsForWavesPerEU: 46
; NumVGPRsForWavesPerEU: 62
; AccumOffset: 64
; Occupancy: 8
; WaveLimiterHint : 0
; COMPUTE_PGM_RSRC2:SCRATCH_EN: 0
; COMPUTE_PGM_RSRC2:USER_SGPR: 6
; COMPUTE_PGM_RSRC2:TRAP_HANDLER: 0
; COMPUTE_PGM_RSRC2:TGID_X_EN: 1
; COMPUTE_PGM_RSRC2:TGID_Y_EN: 0
; COMPUTE_PGM_RSRC2:TGID_Z_EN: 0
; COMPUTE_PGM_RSRC2:TIDIG_COMP_CNT: 0
; COMPUTE_PGM_RSRC3_GFX90A:ACCUM_OFFSET: 15
; COMPUTE_PGM_RSRC3_GFX90A:TG_SPLIT: 0
	.section	.text._ZN2at6native12_GLOBAL__N_143distribution_elementwise_grid_stride_kernelIfLi4EZNS0_9templates4cuda21uniform_and_transformIN3c104HalfEfPNS_17CUDAGeneratorImplEZZZNS4_13cauchy_kernelIS9_EEvRNS_18TensorIteratorBaseEddT_ENKUlvE_clEvENKUlvE1_clEvEUlfE_EEvSC_T1_T2_EUlP25hiprandStatePhilox4_32_10E_ZNS1_27distribution_nullary_kernelIS7_f15HIP_vector_typeIdLj2EES9_SL_SG_EEvSC_SI_RKT3_T4_EUlifE0_EEvlNS_15PhiloxCudaStateESH_SI_,"axG",@progbits,_ZN2at6native12_GLOBAL__N_143distribution_elementwise_grid_stride_kernelIfLi4EZNS0_9templates4cuda21uniform_and_transformIN3c104HalfEfPNS_17CUDAGeneratorImplEZZZNS4_13cauchy_kernelIS9_EEvRNS_18TensorIteratorBaseEddT_ENKUlvE_clEvENKUlvE1_clEvEUlfE_EEvSC_T1_T2_EUlP25hiprandStatePhilox4_32_10E_ZNS1_27distribution_nullary_kernelIS7_f15HIP_vector_typeIdLj2EES9_SL_SG_EEvSC_SI_RKT3_T4_EUlifE0_EEvlNS_15PhiloxCudaStateESH_SI_,comdat
	.globl	_ZN2at6native12_GLOBAL__N_143distribution_elementwise_grid_stride_kernelIfLi4EZNS0_9templates4cuda21uniform_and_transformIN3c104HalfEfPNS_17CUDAGeneratorImplEZZZNS4_13cauchy_kernelIS9_EEvRNS_18TensorIteratorBaseEddT_ENKUlvE_clEvENKUlvE1_clEvEUlfE_EEvSC_T1_T2_EUlP25hiprandStatePhilox4_32_10E_ZNS1_27distribution_nullary_kernelIS7_f15HIP_vector_typeIdLj2EES9_SL_SG_EEvSC_SI_RKT3_T4_EUlifE0_EEvlNS_15PhiloxCudaStateESH_SI_ ; -- Begin function _ZN2at6native12_GLOBAL__N_143distribution_elementwise_grid_stride_kernelIfLi4EZNS0_9templates4cuda21uniform_and_transformIN3c104HalfEfPNS_17CUDAGeneratorImplEZZZNS4_13cauchy_kernelIS9_EEvRNS_18TensorIteratorBaseEddT_ENKUlvE_clEvENKUlvE1_clEvEUlfE_EEvSC_T1_T2_EUlP25hiprandStatePhilox4_32_10E_ZNS1_27distribution_nullary_kernelIS7_f15HIP_vector_typeIdLj2EES9_SL_SG_EEvSC_SI_RKT3_T4_EUlifE0_EEvlNS_15PhiloxCudaStateESH_SI_
	.p2align	8
	.type	_ZN2at6native12_GLOBAL__N_143distribution_elementwise_grid_stride_kernelIfLi4EZNS0_9templates4cuda21uniform_and_transformIN3c104HalfEfPNS_17CUDAGeneratorImplEZZZNS4_13cauchy_kernelIS9_EEvRNS_18TensorIteratorBaseEddT_ENKUlvE_clEvENKUlvE1_clEvEUlfE_EEvSC_T1_T2_EUlP25hiprandStatePhilox4_32_10E_ZNS1_27distribution_nullary_kernelIS7_f15HIP_vector_typeIdLj2EES9_SL_SG_EEvSC_SI_RKT3_T4_EUlifE0_EEvlNS_15PhiloxCudaStateESH_SI_,@function
_ZN2at6native12_GLOBAL__N_143distribution_elementwise_grid_stride_kernelIfLi4EZNS0_9templates4cuda21uniform_and_transformIN3c104HalfEfPNS_17CUDAGeneratorImplEZZZNS4_13cauchy_kernelIS9_EEvRNS_18TensorIteratorBaseEddT_ENKUlvE_clEvENKUlvE1_clEvEUlfE_EEvSC_T1_T2_EUlP25hiprandStatePhilox4_32_10E_ZNS1_27distribution_nullary_kernelIS7_f15HIP_vector_typeIdLj2EES9_SL_SG_EEvSC_SI_RKT3_T4_EUlifE0_EEvlNS_15PhiloxCudaStateESH_SI_: ; @_ZN2at6native12_GLOBAL__N_143distribution_elementwise_grid_stride_kernelIfLi4EZNS0_9templates4cuda21uniform_and_transformIN3c104HalfEfPNS_17CUDAGeneratorImplEZZZNS4_13cauchy_kernelIS9_EEvRNS_18TensorIteratorBaseEddT_ENKUlvE_clEvENKUlvE1_clEvEUlfE_EEvSC_T1_T2_EUlP25hiprandStatePhilox4_32_10E_ZNS1_27distribution_nullary_kernelIS7_f15HIP_vector_typeIdLj2EES9_SL_SG_EEvSC_SI_RKT3_T4_EUlifE0_EEvlNS_15PhiloxCudaStateESH_SI_
; %bb.0:
	s_load_dword s2, s[4:5], 0x20
	s_load_dwordx2 s[0:1], s[4:5], 0x10
	s_load_dwordx4 s[16:19], s[4:5], 0x0
	s_waitcnt lgkmcnt(0)
	s_bitcmp0_b32 s2, 0
	s_mov_b32 s2, 0
	v_pk_mov_b32 v[2:3], s[0:1], s[0:1] op_sel:[0,1]
	v_pk_mov_b32 v[12:13], s[18:19], s[18:19] op_sel:[0,1]
	s_cbranch_scc1 .LBB9_2
; %bb.1:
	v_pk_mov_b32 v[2:3], s[0:1], s[0:1] op_sel:[0,1]
	flat_load_dwordx2 v[2:3], v[2:3]
	v_pk_mov_b32 v[4:5], s[18:19], s[18:19] op_sel:[0,1]
	flat_load_dwordx2 v[12:13], v[4:5]
	s_load_dwordx2 s[0:1], s[4:5], 0x18
	s_waitcnt lgkmcnt(0)
	v_mov_b32_e32 v1, s1
	s_waitcnt vmcnt(0)
	v_add_co_u32_e32 v2, vcc, s0, v2
	v_addc_co_u32_e32 v3, vcc, v3, v1, vcc
.LBB9_2:
	s_load_dword s0, s[4:5], 0x154
	s_load_dword s7, s[4:5], 0x148
	s_waitcnt lgkmcnt(0)
	s_and_b32 s8, s0, 0xffff
	s_add_u32 s9, s16, -1
	s_mul_i32 s33, s7, s8
	s_addc_u32 s3, s17, -1
	s_lshl_b32 s58, s33, 2
	s_cmp_lg_u64 s[2:3], 0
	s_mov_b64 s[0:1], -1
	s_cbranch_scc0 .LBB9_59
; %bb.3:
	v_cvt_f32_u32_e32 v1, s58
	v_cvt_f32_ubyte0_e32 v4, 0
	s_sub_u32 s2, 0, s58
	s_subb_u32 s10, 0, 0
	v_madmk_f32 v1, v4, 0x4f800000, v1
	v_rcp_f32_e32 v1, v1
	v_mul_f32_e32 v1, 0x5f7ffffc, v1
	v_mul_f32_e32 v4, 0x2f800000, v1
	v_trunc_f32_e32 v4, v4
	v_madmk_f32 v1, v4, 0xcf800000, v1
	v_cvt_u32_f32_e32 v4, v4
	v_cvt_u32_f32_e32 v1, v1
	v_readfirstlane_b32 s11, v4
	v_readfirstlane_b32 s12, v1
	s_mul_i32 s13, s2, s11
	s_mul_hi_u32 s15, s2, s12
	s_mul_i32 s14, s10, s12
	s_add_i32 s13, s15, s13
	s_add_i32 s13, s13, s14
	s_mul_i32 s18, s2, s12
	s_mul_hi_u32 s14, s12, s13
	s_mul_i32 s15, s12, s13
	s_mul_hi_u32 s12, s12, s18
	s_add_u32 s12, s12, s15
	s_addc_u32 s14, 0, s14
	s_mul_hi_u32 s19, s11, s18
	s_mul_i32 s18, s11, s18
	s_add_u32 s12, s12, s18
	s_mul_hi_u32 s15, s11, s13
	s_addc_u32 s12, s14, s19
	s_addc_u32 s14, s15, 0
	s_mul_i32 s13, s11, s13
	s_add_u32 s12, s12, s13
	s_addc_u32 s13, 0, s14
	v_add_co_u32_e32 v1, vcc, s12, v1
	s_cmp_lg_u64 vcc, 0
	s_addc_u32 s11, s11, s13
	v_readfirstlane_b32 s13, v1
	s_mul_i32 s12, s2, s11
	s_mul_hi_u32 s14, s2, s13
	s_add_i32 s12, s14, s12
	s_mul_i32 s10, s10, s13
	s_add_i32 s12, s12, s10
	s_mul_i32 s2, s2, s13
	s_mul_hi_u32 s14, s11, s2
	s_mul_i32 s15, s11, s2
	s_mul_i32 s19, s13, s12
	s_mul_hi_u32 s2, s13, s2
	s_mul_hi_u32 s18, s13, s12
	s_add_u32 s2, s2, s19
	s_addc_u32 s13, 0, s18
	s_add_u32 s2, s2, s15
	s_mul_hi_u32 s10, s11, s12
	s_addc_u32 s2, s13, s14
	s_addc_u32 s10, s10, 0
	s_mul_i32 s12, s11, s12
	s_add_u32 s2, s2, s12
	s_addc_u32 s10, 0, s10
	v_add_co_u32_e32 v1, vcc, s2, v1
	s_cmp_lg_u64 vcc, 0
	s_addc_u32 s12, s11, s10
	s_ashr_i32 s10, s3, 31
	s_add_u32 s2, s9, s10
	s_mov_b32 s11, s10
	s_addc_u32 s3, s3, s10
	s_xor_b64 s[2:3], s[2:3], s[10:11]
	v_readfirstlane_b32 s15, v1
	s_mul_i32 s14, s2, s12
	s_mul_hi_u32 s18, s2, s15
	s_mul_hi_u32 s13, s2, s12
	s_add_u32 s14, s18, s14
	s_addc_u32 s13, 0, s13
	s_mul_hi_u32 s19, s3, s15
	s_mul_i32 s15, s3, s15
	s_add_u32 s14, s14, s15
	s_mul_hi_u32 s18, s3, s12
	s_addc_u32 s13, s13, s19
	s_addc_u32 s14, s18, 0
	s_mul_i32 s12, s3, s12
	s_add_u32 s12, s13, s12
	s_addc_u32 s13, 0, s14
	s_add_u32 s14, s12, 1
	s_addc_u32 s15, s13, 0
	s_add_u32 s18, s12, 2
	s_mul_i32 s20, s58, s13
	s_mul_hi_u32 s21, s58, s12
	s_addc_u32 s19, s13, 0
	s_add_i32 s21, s21, s20
	s_mul_i32 s20, s58, s12
	v_mov_b32_e32 v1, s20
	v_sub_co_u32_e32 v1, vcc, s2, v1
	s_cmp_lg_u64 vcc, 0
	s_subb_u32 s2, s3, s21
	v_subrev_co_u32_e32 v4, vcc, s58, v1
	s_cmp_lg_u64 vcc, 0
	s_subb_u32 s3, s2, 0
	v_readfirstlane_b32 s20, v4
	s_cmp_ge_u32 s20, s58
	s_cselect_b32 s20, -1, 0
	s_cmp_eq_u32 s3, 0
	s_cselect_b32 s3, s20, -1
	s_cmp_lg_u32 s3, 0
	s_cselect_b32 s3, s19, s15
	v_readfirstlane_b32 s15, v1
	s_cselect_b32 s14, s18, s14
	s_cmp_ge_u32 s15, s58
	s_cselect_b32 s15, -1, 0
	s_cmp_eq_u32 s2, 0
	s_cselect_b32 s2, s15, -1
	s_cmp_lg_u32 s2, 0
	s_cselect_b32 s3, s3, s13
	s_cselect_b32 s2, s14, s12
	s_xor_b64 s[2:3], s[2:3], s[10:11]
	s_sub_u32 s2, s2, s10
	s_subb_u32 s3, s3, s10
	s_cbranch_execnz .LBB9_5
.LBB9_4:
	v_cvt_f32_u32_e32 v1, s58
	s_sub_i32 s0, 0, s58
	s_mov_b32 s3, 0
	v_rcp_iflag_f32_e32 v1, v1
	v_mul_f32_e32 v1, 0x4f7ffffe, v1
	v_cvt_u32_f32_e32 v1, v1
	v_readfirstlane_b32 s1, v1
	s_mul_i32 s0, s0, s1
	s_mul_hi_u32 s0, s1, s0
	s_add_i32 s1, s1, s0
	s_mul_hi_u32 s0, s9, s1
	s_mul_i32 s2, s0, s58
	s_sub_i32 s2, s9, s2
	s_add_i32 s1, s0, 1
	s_sub_i32 s9, s2, s58
	s_cmp_ge_u32 s2, s58
	s_cselect_b32 s0, s1, s0
	s_cselect_b32 s2, s9, s2
	s_add_i32 s1, s0, 1
	s_cmp_ge_u32 s2, s58
	s_cselect_b32 s2, s1, s0
.LBB9_5:
	v_mov_b32_e32 v1, 0
	v_mov_b32_e32 v4, s6
	v_mad_u64_u32 v[14:15], s[0:1], s8, v4, v[0:1]
	s_add_u32 s0, s2, 1
	s_addc_u32 s1, s3, 0
	s_mul_hi_u32 s2, s7, s8
	s_mul_i32 s1, s33, s1
	s_mul_hi_u32 s3, s33, s0
	s_add_i32 s1, s3, s1
	s_mul_i32 s2, s2, s0
	s_add_i32 s1, s1, s2
	s_mul_i32 s0, s33, s0
	s_lshl_b64 s[18:19], s[0:1], 2
	v_cmp_gt_i64_e32 vcc, s[18:19], v[14:15]
	s_and_saveexec_b64 s[0:1], vcc
	s_cbranch_execz .LBB9_58
; %bb.6:
	s_mov_b32 s0, 0x5384540f
	v_mov_b32_e32 v0, v13
	v_add_co_u32_e32 v22, vcc, s0, v12
	s_mov_b32 s0, 0x646e171e
	v_add_co_u32_e32 v23, vcc, s0, v0
	s_mov_b32 s0, 0x1715609d
	;; [unrolled: 2-line block ×6, first 2 shown]
	v_alignbit_b32 v29, v3, v2, 2
	s_mov_b32 s60, 0xd2511f53
	v_add_co_u32_e32 v28, vcc, s0, v12
	v_mad_u64_u32 v[4:5], s[0:1], v29, s60, 0
	v_and_b32_e32 v18, 3, v2
	v_xor_b32_e32 v2, v5, v13
	v_xor_b32_e32 v2, v2, v15
	s_mov_b32 s61, 0xcd9e8d57
	v_mad_u64_u32 v[6:7], s[0:1], v2, s61, 0
	v_xor_b32_e32 v2, v28, v7
	v_mad_u64_u32 v[8:9], s[0:1], v14, s61, 0
	v_xor_b32_e32 v2, v2, v8
	;; [unrolled: 2-line block ×3, first 2 shown]
	v_lshrrev_b32_e32 v30, 2, v3
	v_xor_b32_e32 v2, v2, v30
	v_xor_b32_e32 v5, v27, v11
	v_mad_u64_u32 v[2:3], s[0:1], v2, s60, 0
	v_xor_b32_e32 v2, v5, v2
	v_mad_u64_u32 v[8:9], s[0:1], v2, s61, 0
	s_mov_b32 s0, 0xbb67ae85
	v_add_co_u32_e32 v31, vcc, s0, v0
	v_xor_b32_e32 v2, v31, v3
	v_xor_b32_e32 v2, v2, v4
	v_xor_b32_e32 v5, v26, v9
	v_mad_u64_u32 v[2:3], s[0:1], v2, s61, 0
	v_xor_b32_e32 v2, v5, v2
	v_mad_u64_u32 v[4:5], s[0:1], v2, s60, 0
	s_mov_b32 s0, 0x3c6ef372
	v_add_co_u32_e32 v32, vcc, s0, v12
	v_xor_b32_e32 v2, v32, v3
	;; [unrolled: 8-line block ×6, first 2 shown]
	v_add_co_u32_e32 v21, vcc, 0xdb3d7428, v0
	v_xor_b32_e32 v2, v2, v6
	v_xor_b32_e32 v5, v21, v5
	v_mad_u64_u32 v[2:3], s[0:1], v2, s60, 0
	v_xor_b32_e32 v2, v5, v2
	v_mad_u64_u32 v[16:17], s[0:1], v2, s61, 0
	s_mov_b32 s0, 0x1fd5c5a3
	v_add_co_u32_e32 v37, vcc, s0, v0
	v_xor_b32_e32 v0, v37, v3
	v_xor_b32_e32 v0, v0, v10
	v_mad_u64_u32 v[2:3], s[0:1], v0, s61, 0
	s_mov_b32 s0, 0xf1bbcdc8
	s_load_dwordx8 s[8:15], s[4:5], 0x30
	v_add_u32_e32 v19, 0x8ff34781, v12
	v_xor_b32_e32 v0, v17, v2
	v_add_co_u32_e32 v38, vcc, s0, v12
	v_xor_b32_e32 v6, v19, v0
	v_xor_b32_e32 v0, v38, v3
	;; [unrolled: 1-line block ×3, first 2 shown]
	s_add_u32 s34, s4, 48
	v_mad_u64_u32 v[2:3], s[0:1], v0, s60, 0
	s_addc_u32 s35, s5, 0
	s_waitcnt lgkmcnt(0)
	s_add_i32 s0, s8, -1
	s_cmp_lt_u32 s0, 2
	s_cselect_b64 s[36:37], -1, 0
	s_cmp_lg_u32 s8, 0
	s_cselect_b64 s[38:39], -1, 0
	s_add_u32 s40, s4, 0xf4
	s_addc_u32 s41, s5, 0
	s_min_u32 s1, s0, 15
	s_cmp_gt_u32 s8, 1
	s_cselect_b64 s[42:43], -1, 0
	s_add_i32 s1, s1, 1
	s_mov_b32 s8, s13
	s_load_dwordx2 s[44:45], s[4:5], 0xf4
	s_load_dwordx4 s[20:23], s[4:5], 0x138
	s_and_b32 s13, s1, 3
	s_cmp_lg_u32 s0, 2
	s_cselect_b64 s[46:47], -1, 0
	s_and_b32 s15, s1, 28
	v_add_u32_e32 v20, 0x96a522ad, v13
	v_xor_b32_e32 v0, v3, v4
	s_cmp_lg_u32 s13, 0
	s_mov_b32 s59, 0
	v_xor_b32_e32 v8, v20, v0
	v_mov_b32_e32 v7, v16
	v_mov_b32_e32 v9, v2
	s_mov_b64 s[48:49], 0
	s_cselect_b64 s[50:51], -1, 0
	s_mov_b32 s62, 0x3f7ffffe
	s_brev_b32 s63, 44
	s_brev_b32 s64, 18
	s_mov_b32 s65, 0xfe5163ab
	s_mov_b32 s66, 0x3c439041
	;; [unrolled: 1-line block ×10, first 2 shown]
	v_mov_b32_e32 v39, 0x3f93f425
	s_movk_i32 s75, 0x1f8
	v_mov_b32_e32 v40, 0x3f7ffffe
	v_bfrev_b32_e32 v41, 44
	v_not_b32_e32 v42, 63
	v_not_b32_e32 v43, 31
	v_mov_b32_e32 v44, 0x7fc00000
	v_mov_b32_e32 v45, v14
	;; [unrolled: 1-line block ×3, first 2 shown]
	s_branch .LBB9_9
.LBB9_7:                                ;   in Loop: Header=BB9_9 Depth=1
	s_or_b64 exec, exec, s[0:1]
	v_mul_f32_e32 v9, v0, v0
	v_mov_b32_e32 v10, 0xbf039337
	v_fmac_f32_e32 v10, 0x3c971480, v9
	v_fma_f32 v10, v9, v10, v39
	v_rcp_f32_e32 v10, v10
	v_mov_b32_e32 v11, 0x3ec54587
	v_fmac_f32_e32 v11, 0xbc8cedd3, v9
	v_and_b32_e32 v8, 1, v8
	v_mul_f32_e32 v10, v11, v10
	v_mul_f32_e32 v9, v9, v10
	v_fma_f32 v10, v9, v0, v0
	v_rcp_f32_e32 v11, v10
	v_sub_f32_e32 v17, v10, v0
	v_fma_f32 v0, v9, v0, -v17
	v_cmp_eq_u32_e32 vcc, 0, v8
	v_fma_f32 v9, v10, -v11, 1.0
	v_fma_f32 v0, v0, -v11, v9
	v_fma_f32 v0, v0, -v11, -v11
	v_cndmask_b32_e32 v0, v0, v10, vcc
	v_xor_b32_e32 v7, v7, v5
	v_xor_b32_e32 v0, v7, v0
	v_cmp_class_f32_e64 vcc, v5, s75
	v_cndmask_b32_e32 v0, v44, v0, vcc
	s_waitcnt lgkmcnt(0)
	v_mov_b32_e32 v5, s22
	v_fma_mixlo_f16 v0, s23, v0, v5
	global_store_short v6, v0, s[20:21]
.LBB9_8:                                ;   in Loop: Header=BB9_9 Depth=1
	s_or_b64 exec, exec, s[52:53]
	v_add_co_u32_e32 v14, vcc, s58, v14
	v_mov_b32_e32 v5, v16
	v_addc_co_u32_e32 v15, vcc, 0, v15, vcc
	v_cmp_le_i64_e32 vcc, s[18:19], v[14:15]
	v_pk_mov_b32 v[8:9], v[4:5], v[4:5] op_sel:[0,1]
	s_or_b64 s[48:49], vcc, s[48:49]
	v_pk_mov_b32 v[6:7], v[2:3], v[2:3] op_sel:[0,1]
	s_waitcnt lgkmcnt(0)
	s_barrier
	s_andn2_b64 exec, exec, s[48:49]
	s_cbranch_execz .LBB9_58
.LBB9_9:                                ; =>This Loop Header: Depth=1
                                        ;     Child Loop BB9_28 Depth 2
                                        ;     Child Loop BB9_33 Depth 2
	;; [unrolled: 1-line block ×4, first 2 shown]
	v_add_co_u32_e32 v29, vcc, 1, v29
	v_cndmask_b32_e64 v0, 0, 1, vcc
	v_addc_co_u32_e32 v30, vcc, 0, v30, vcc
	v_cmp_eq_u32_e32 vcc, 0, v30
	v_cndmask_b32_e32 v0, 0, v0, vcc
	v_add_u32_e32 v45, v0, v45
	v_cmp_eq_u32_e32 vcc, 0, v45
	v_cndmask_b32_e32 v0, 0, v0, vcc
	v_mad_u64_u32 v[2:3], s[0:1], v29, s60, 0
	v_mad_u64_u32 v[4:5], s[0:1], v45, s61, 0
	v_add_u32_e32 v46, v0, v46
	v_xor_b32_e32 v0, v5, v12
	v_xor_b32_e32 v3, v3, v13
	v_xor_b32_e32 v0, v30, v0
	v_xor_b32_e32 v3, v46, v3
	v_mad_u64_u32 v[10:11], s[0:1], v0, s60, 0
	v_mad_u64_u32 v[16:17], s[0:1], v3, s61, 0
	v_xor_b32_e32 v0, v28, v17
	v_xor_b32_e32 v3, v31, v11
	v_xor_b32_e32 v0, v0, v4
	v_xor_b32_e32 v4, v3, v2
	v_mad_u64_u32 v[2:3], s[0:1], v0, s60, 0
	v_mad_u64_u32 v[4:5], s[0:1], v4, s61, 0
	v_xor_b32_e32 v0, v32, v5
	v_xor_b32_e32 v3, v27, v3
	v_xor_b32_e32 v0, v0, v16
	v_xor_b32_e32 v3, v3, v10
	v_mad_u64_u32 v[10:11], s[0:1], v0, s60, 0
	v_mad_u64_u32 v[16:17], s[0:1], v3, s61, 0
	v_xor_b32_e32 v0, v26, v17
	v_xor_b32_e32 v3, v33, v11
	v_xor_b32_e32 v0, v0, v4
	v_xor_b32_e32 v4, v3, v2
	v_mad_u64_u32 v[2:3], s[0:1], v0, s60, 0
	v_mad_u64_u32 v[4:5], s[0:1], v4, s61, 0
	v_xor_b32_e32 v0, v34, v5
	v_xor_b32_e32 v3, v25, v3
	v_xor_b32_e32 v0, v0, v16
	v_xor_b32_e32 v3, v3, v10
	v_mad_u64_u32 v[10:11], s[0:1], v0, s60, 0
	v_mad_u64_u32 v[16:17], s[0:1], v3, s61, 0
	v_xor_b32_e32 v0, v24, v17
	v_xor_b32_e32 v3, v35, v11
	v_xor_b32_e32 v0, v0, v4
	v_xor_b32_e32 v4, v3, v2
	v_mad_u64_u32 v[2:3], s[0:1], v0, s60, 0
	v_mad_u64_u32 v[4:5], s[0:1], v4, s61, 0
	v_xor_b32_e32 v0, v36, v5
	v_xor_b32_e32 v3, v23, v3
	v_xor_b32_e32 v0, v0, v16
	v_xor_b32_e32 v3, v3, v10
	v_mad_u64_u32 v[10:11], s[0:1], v0, s60, 0
	v_mad_u64_u32 v[16:17], s[0:1], v3, s61, 0
	v_xor_b32_e32 v0, v22, v17
	v_xor_b32_e32 v3, v37, v11
	v_xor_b32_e32 v0, v0, v4
	v_xor_b32_e32 v2, v3, v2
	v_mad_u64_u32 v[4:5], s[0:1], v0, s60, 0
	v_mad_u64_u32 v[2:3], s[0:1], v2, s61, 0
	v_xor_b32_e32 v0, v38, v3
	v_xor_b32_e32 v3, v21, v5
	v_xor_b32_e32 v3, v3, v10
	v_xor_b32_e32 v0, v0, v16
	v_mad_u64_u32 v[10:11], s[0:1], v3, s61, 0
	v_mad_u64_u32 v[16:17], s[0:1], v0, s60, 0
	v_xor_b32_e32 v0, v11, v2
	v_xor_b32_e32 v2, v19, v0
	;; [unrolled: 1-line block ×4, first 2 shown]
	v_mov_b32_e32 v3, v10
	v_mov_b32_e32 v4, v11
	v_cmp_lt_i32_e32 vcc, 1, v18
	s_and_saveexec_b64 s[0:1], vcc
	s_xor_b64 s[0:1], exec, s[0:1]
	s_cbranch_execnz .LBB9_12
; %bb.10:                               ;   in Loop: Header=BB9_9 Depth=1
	s_andn2_saveexec_b64 s[0:1], s[0:1]
	s_cbranch_execnz .LBB9_17
.LBB9_11:                               ;   in Loop: Header=BB9_9 Depth=1
	s_or_b64 exec, exec, s[0:1]
	v_cmp_gt_i64_e32 vcc, s[16:17], v[14:15]
	s_and_saveexec_b64 s[52:53], vcc
	s_cbranch_execnz .LBB9_20
	s_branch .LBB9_39
.LBB9_12:                               ;   in Loop: Header=BB9_9 Depth=1
	v_cmp_lt_i32_e32 vcc, 2, v18
	s_and_saveexec_b64 s[2:3], vcc
	s_xor_b64 s[2:3], exec, s[2:3]
; %bb.13:                               ;   in Loop: Header=BB9_9 Depth=1
	v_mov_b32_e32 v8, v9
	v_mov_b32_e32 v9, v2
	v_pk_mov_b32 v[6:7], v[8:9], v[8:9] op_sel:[0,1]
	v_pk_mov_b32 v[8:9], v[10:11], v[10:11] op_sel:[0,1]
                                        ; implicit-def: $vgpr10_vgpr11
; %bb.14:                               ;   in Loop: Header=BB9_9 Depth=1
	s_andn2_saveexec_b64 s[2:3], s[2:3]
; %bb.15:                               ;   in Loop: Header=BB9_9 Depth=1
	v_mov_b32_e32 v6, v8
	v_mov_b32_e32 v7, v9
	;; [unrolled: 1-line block ×4, first 2 shown]
; %bb.16:                               ;   in Loop: Header=BB9_9 Depth=1
	s_or_b64 exec, exec, s[2:3]
	s_andn2_saveexec_b64 s[0:1], s[0:1]
	s_cbranch_execz .LBB9_11
.LBB9_17:                               ;   in Loop: Header=BB9_9 Depth=1
	v_cmp_eq_u32_e32 vcc, 1, v18
	s_and_saveexec_b64 s[2:3], vcc
; %bb.18:                               ;   in Loop: Header=BB9_9 Depth=1
	v_mov_b32_e32 v6, v7
	v_mov_b32_e32 v7, v8
	v_mov_b32_e32 v8, v9
	v_mov_b32_e32 v9, v2
; %bb.19:                               ;   in Loop: Header=BB9_9 Depth=1
	s_or_b64 exec, exec, s[2:3]
	s_or_b64 exec, exec, s[0:1]
	v_cmp_gt_i64_e32 vcc, s[16:17], v[14:15]
	s_and_saveexec_b64 s[52:53], vcc
	s_cbranch_execz .LBB9_39
.LBB9_20:                               ;   in Loop: Header=BB9_9 Depth=1
	s_and_b64 vcc, exec, s[36:37]
	s_cbranch_vccz .LBB9_24
; %bb.21:                               ;   in Loop: Header=BB9_9 Depth=1
	v_mul_hi_u32 v0, v14, s10
	v_add_u32_e32 v0, v0, v14
	v_lshrrev_b32_e32 v0, s11, v0
	v_mul_lo_u32 v5, v0, s9
	v_sub_u32_e32 v5, v14, v5
	s_andn2_b64 vcc, exec, s[42:43]
	s_waitcnt lgkmcnt(0)
	v_mul_lo_u32 v10, v5, s44
	s_cbranch_vccnz .LBB9_23
; %bb.22:                               ;   in Loop: Header=BB9_9 Depth=1
	v_mul_hi_u32 v5, s8, v0
	v_add_u32_e32 v5, v0, v5
	v_lshrrev_b32_e32 v5, s14, v5
	v_mul_lo_u32 v5, v5, s12
	v_sub_u32_e32 v0, v0, v5
	v_mad_u64_u32 v[10:11], s[0:1], v0, s45, v[10:11]
.LBB9_23:                               ;   in Loop: Header=BB9_9 Depth=1
	s_cbranch_execz .LBB9_25
	s_branch .LBB9_34
.LBB9_24:                               ;   in Loop: Header=BB9_9 Depth=1
                                        ; implicit-def: $vgpr10
.LBB9_25:                               ;   in Loop: Header=BB9_9 Depth=1
	s_andn2_b64 vcc, exec, s[38:39]
	s_cbranch_vccnz .LBB9_30
; %bb.26:                               ;   in Loop: Header=BB9_9 Depth=1
	s_mov_b32 s2, 0
	s_andn2_b64 vcc, exec, s[46:47]
	v_mov_b32_e32 v10, 0
	s_cbranch_vccnz .LBB9_31
; %bb.27:                               ;   in Loop: Header=BB9_9 Depth=1
	s_mov_b32 s76, 0
	v_mov_b32_e32 v10, 0
	s_mov_b64 s[54:55], s[34:35]
	s_mov_b64 s[56:57], s[40:41]
	v_mov_b32_e32 v0, v14
.LBB9_28:                               ;   Parent Loop BB9_9 Depth=1
                                        ; =>  This Inner Loop Header: Depth=2
	s_load_dwordx8 s[0:7], s[54:55], 0x4
	s_load_dwordx4 s[24:27], s[54:55], 0x24
	s_load_dwordx4 s[28:31], s[56:57], 0x0
	s_add_u32 s54, s54, 48
	s_addc_u32 s55, s55, 0
	s_waitcnt lgkmcnt(0)
	v_mul_hi_u32 v5, s1, v0
	v_add_u32_e32 v5, v0, v5
	v_lshrrev_b32_e32 v5, s2, v5
	v_mul_lo_u32 v11, v5, s0
	v_mul_hi_u32 v17, s4, v5
	v_sub_u32_e32 v0, v0, v11
	v_add_u32_e32 v11, v5, v17
	v_lshrrev_b32_e32 v11, s5, v11
	v_mul_lo_u32 v17, v11, s3
	v_mul_hi_u32 v47, s7, v11
	v_sub_u32_e32 v5, v5, v17
	v_add_u32_e32 v17, v11, v47
	v_mul_lo_u32 v0, v0, s28
	v_mul_lo_u32 v5, v5, s29
	v_lshrrev_b32_e32 v17, s24, v17
	v_add3_u32 v5, v0, v10, v5
	v_mul_lo_u32 v0, v17, s6
	v_mul_hi_u32 v10, s26, v17
	v_sub_u32_e32 v0, v11, v0
	v_add_u32_e32 v10, v17, v10
	v_mul_lo_u32 v11, v0, s30
	v_lshrrev_b32_e32 v0, s27, v10
	s_add_i32 s76, s76, 4
	v_mul_lo_u32 v10, v0, s25
	s_add_u32 s56, s56, 16
	v_sub_u32_e32 v10, v17, v10
	s_addc_u32 s57, s57, 0
	v_mul_lo_u32 v10, v10, s31
	s_cmp_lg_u32 s15, s76
	v_add3_u32 v10, v11, v5, v10
	s_cbranch_scc1 .LBB9_28
; %bb.29:                               ;   in Loop: Header=BB9_9 Depth=1
	s_mov_b32 s2, s15
	s_andn2_b64 vcc, exec, s[50:51]
	s_cbranch_vccz .LBB9_32
	s_branch .LBB9_34
.LBB9_30:                               ;   in Loop: Header=BB9_9 Depth=1
	v_mov_b32_e32 v10, 0
	s_branch .LBB9_34
.LBB9_31:                               ;   in Loop: Header=BB9_9 Depth=1
	v_mov_b32_e32 v0, v14
	s_andn2_b64 vcc, exec, s[50:51]
	s_cbranch_vccnz .LBB9_34
.LBB9_32:                               ;   in Loop: Header=BB9_9 Depth=1
	s_lshl_b32 s0, s2, 2
	s_add_u32 s0, s40, s0
	s_addc_u32 s1, s41, 0
	s_mul_i32 s2, s2, 12
	s_add_u32 s2, s34, s2
	s_addc_u32 s3, s35, 0
	s_mov_b32 s4, s13
.LBB9_33:                               ;   Parent Loop BB9_9 Depth=1
                                        ; =>  This Inner Loop Header: Depth=2
	s_load_dwordx2 s[6:7], s[2:3], 0x4
	s_load_dword s5, s[2:3], 0xc
	s_load_dword s24, s[0:1], 0x0
	s_add_u32 s2, s2, 12
	s_addc_u32 s3, s3, 0
	s_waitcnt lgkmcnt(0)
	v_mul_hi_u32 v5, s7, v0
	v_add_u32_e32 v5, v0, v5
	v_lshrrev_b32_e32 v5, s5, v5
	s_add_u32 s0, s0, 4
	v_mul_lo_u32 v11, v5, s6
	s_addc_u32 s1, s1, 0
	s_add_i32 s4, s4, -1
	v_sub_u32_e32 v11, v0, v11
	s_cmp_eq_u32 s4, 0
	v_mov_b32_e32 v0, v5
	v_mad_u64_u32 v[10:11], s[6:7], v11, s24, v[10:11]
	s_cbranch_scc0 .LBB9_33
.LBB9_34:                               ;   in Loop: Header=BB9_9 Depth=1
	v_lshrrev_b32_e32 v0, 11, v7
	v_cvt_f64_u32_e32 v[48:49], v0
	v_ldexp_f64 v[48:49], v[48:49], 32
	v_cvt_f64_u32_e32 v[6:7], v6
	v_add_f64 v[6:7], v[48:49], v[6:7]
	v_mov_b32_e32 v48, 0
	v_mov_b32_e32 v49, 0x3ca00000
	v_fmac_f64_e32 v[48:49], 0x3ca00000, v[6:7]
	v_cvt_f32_f64_e32 v0, v[48:49]
	v_cmp_nlt_f32_e32 vcc, s62, v0
	v_cndmask_b32_e32 v0, v40, v0, vcc
	v_cmp_ngt_f32_e32 vcc, s63, v0
	v_cndmask_b32_e32 v0, v41, v0, vcc
	v_add_f32_e32 v0, -0.5, v0
	v_mul_f32_e32 v5, 0x40490fdb, v0
	v_and_b32_e32 v6, 0x7fffffff, v5
	v_cmp_nlt_f32_e64 s[0:1], |v5|, s64
                                        ; implicit-def: $vgpr7
                                        ; implicit-def: $vgpr0
	s_and_saveexec_b64 s[2:3], s[0:1]
	s_xor_b64 s[6:7], exec, s[2:3]
	s_cbranch_execz .LBB9_36
; %bb.35:                               ;   in Loop: Header=BB9_9 Depth=1
	v_lshrrev_b32_e32 v0, 23, v6
	v_add_u32_e32 v0, 0xffffff88, v0
	v_cmp_lt_u32_e32 vcc, 63, v0
	v_cndmask_b32_e32 v7, 0, v42, vcc
	v_add_u32_e32 v0, v7, v0
	v_cmp_lt_u32_e64 s[0:1], 31, v0
	v_cndmask_b32_e64 v7, 0, v43, s[0:1]
	v_add_u32_e32 v0, v7, v0
	v_cmp_lt_u32_e64 s[2:3], 31, v0
	v_cndmask_b32_e64 v7, 0, v43, s[2:3]
	v_add_u32_e32 v7, v7, v0
	v_and_b32_e32 v0, 0x7fffff, v6
	v_or_b32_e32 v11, 0x800000, v0
	v_mad_u64_u32 v[48:49], s[4:5], v11, s65, 0
	v_mov_b32_e32 v0, v49
	v_mad_u64_u32 v[50:51], s[4:5], v11, s66, v[0:1]
	v_mov_b32_e32 v0, v51
	;; [unrolled: 2-line block ×6, first 2 shown]
	v_mad_u64_u32 v[60:61], s[4:5], v11, s71, v[0:1]
	v_cndmask_b32_e32 v17, v58, v54, vcc
	v_cndmask_b32_e32 v0, v60, v56, vcc
	;; [unrolled: 1-line block ×3, first 2 shown]
	v_cndmask_b32_e64 v11, v0, v17, s[0:1]
	v_cndmask_b32_e64 v0, v47, v0, s[0:1]
	v_cndmask_b32_e32 v47, v56, v52, vcc
	v_cndmask_b32_e64 v17, v17, v47, s[0:1]
	v_cndmask_b32_e64 v0, v0, v11, s[2:3]
	;; [unrolled: 1-line block ×3, first 2 shown]
	v_sub_u32_e32 v49, 32, v7
	v_alignbit_b32 v51, v0, v11, v49
	v_cmp_eq_u32_e64 s[4:5], 0, v7
	v_cndmask_b32_e64 v7, v51, v0, s[4:5]
	v_cndmask_b32_e32 v0, v54, v50, vcc
	v_cndmask_b32_e64 v47, v47, v0, s[0:1]
	v_cndmask_b32_e64 v17, v17, v47, s[2:3]
	v_alignbit_b32 v50, v11, v17, v49
	v_cndmask_b32_e32 v48, v52, v48, vcc
	v_cndmask_b32_e64 v11, v50, v11, s[4:5]
	v_bfe_u32 v53, v7, 29, 1
	v_cndmask_b32_e64 v0, v0, v48, s[0:1]
	v_alignbit_b32 v50, v7, v11, 30
	v_sub_u32_e32 v54, 0, v53
	v_cndmask_b32_e64 v0, v47, v0, s[2:3]
	v_xor_b32_e32 v55, v50, v54
	v_alignbit_b32 v47, v17, v0, v49
	v_cndmask_b32_e64 v17, v47, v17, s[4:5]
	v_ffbh_u32_e32 v47, v55
	v_add_u32_e32 v47, 1, v47
	v_cmp_ne_u32_e32 vcc, v50, v54
	v_alignbit_b32 v11, v11, v17, 30
	v_cndmask_b32_e32 v47, 33, v47, vcc
	v_alignbit_b32 v0, v17, v0, 30
	v_xor_b32_e32 v11, v11, v54
	v_sub_u32_e32 v48, 32, v47
	v_xor_b32_e32 v0, v0, v54
	v_alignbit_b32 v49, v55, v11, v48
	v_alignbit_b32 v0, v11, v0, v48
	v_alignbit_b32 v11, v49, v0, 9
	v_ffbh_u32_e32 v17, v11
	v_min_u32_e32 v17, 32, v17
	v_lshrrev_b32_e32 v51, 29, v7
	v_sub_u32_e32 v48, 31, v17
	v_alignbit_b32 v0, v11, v0, v48
	v_lshlrev_b32_e32 v11, 31, v51
	v_or_b32_e32 v48, 0x33800000, v11
	v_add_lshl_u32 v17, v17, v47, 23
	v_lshrrev_b32_e32 v0, 9, v0
	v_sub_u32_e32 v17, v48, v17
	v_or_b32_e32 v0, v17, v0
	v_alignbit_b32 v17, v47, v49, 9
	v_or_b32_e32 v11, v17, v11
	v_xor_b32_e32 v11, 1.0, v11
	v_mul_f32_e32 v17, 0x3fc90fda, v11
	v_fma_f32 v47, v11, s72, -v17
	v_fmac_f32_e32 v47, 0x33a22168, v11
	v_fmac_f32_e32 v47, 0x3fc90fda, v0
	v_lshrrev_b32_e32 v7, 30, v7
	v_add_f32_e32 v0, v17, v47
	v_add_u32_e32 v7, v53, v7
.LBB9_36:                               ;   in Loop: Header=BB9_9 Depth=1
	s_andn2_saveexec_b64 s[0:1], s[6:7]
; %bb.37:                               ;   in Loop: Header=BB9_9 Depth=1
	v_mul_f32_e64 v0, |v5|, s73
	v_rndne_f32_e32 v11, v0
	v_cvt_i32_f32_e32 v7, v11
	v_fma_f32 v0, v11, s74, |v5|
	v_fmac_f32_e32 v0, 0xb3a22168, v11
	v_fmac_f32_e32 v0, 0xa7c234c4, v11
; %bb.38:                               ;   in Loop: Header=BB9_9 Depth=1
	s_or_b64 exec, exec, s[0:1]
	v_mul_f32_e32 v11, v0, v0
	v_mov_b32_e32 v17, 0xbf039337
	v_fmac_f32_e32 v17, 0x3c971480, v11
	v_fma_f32 v17, v11, v17, v39
	v_rcp_f32_e32 v17, v17
	v_mov_b32_e32 v47, 0x3ec54587
	v_fmac_f32_e32 v47, 0xbc8cedd3, v11
	v_and_b32_e32 v7, 1, v7
	v_mul_f32_e32 v17, v47, v17
	v_mul_f32_e32 v11, v11, v17
	v_fma_f32 v17, v11, v0, v0
	v_rcp_f32_e32 v47, v17
	v_sub_f32_e32 v48, v17, v0
	v_fma_f32 v0, v11, v0, -v48
	v_cmp_eq_u32_e32 vcc, 0, v7
	v_fma_f32 v11, v17, -v47, 1.0
	v_fma_f32 v0, v0, -v47, v11
	v_fma_f32 v0, v0, -v47, -v47
	v_cndmask_b32_e32 v0, v0, v17, vcc
	v_xor_b32_e32 v6, v6, v5
	v_xor_b32_e32 v0, v6, v0
	v_cmp_class_f32_e64 vcc, v5, s75
	v_cndmask_b32_e32 v0, v44, v0, vcc
	s_waitcnt lgkmcnt(0)
	v_mov_b32_e32 v5, s22
	v_fma_mixlo_f16 v0, s23, v0, v5
	global_store_short v10, v0, s[20:21]
.LBB9_39:                               ;   in Loop: Header=BB9_9 Depth=1
	s_or_b64 exec, exec, s[52:53]
	v_mov_b32_e32 v0, s59
	v_add_co_u32_e32 v10, vcc, s33, v14
	v_addc_co_u32_e32 v11, vcc, v15, v0, vcc
	v_cmp_gt_i64_e32 vcc, s[16:17], v[10:11]
	s_and_saveexec_b64 s[52:53], vcc
	s_cbranch_execz .LBB9_8
; %bb.40:                               ;   in Loop: Header=BB9_9 Depth=1
	s_and_b64 vcc, exec, s[36:37]
	s_cbranch_vccz .LBB9_44
; %bb.41:                               ;   in Loop: Header=BB9_9 Depth=1
	v_mul_hi_u32 v0, v10, s10
	v_add_u32_e32 v0, v0, v10
	v_lshrrev_b32_e32 v0, s11, v0
	v_mul_lo_u32 v5, v0, s9
	v_sub_u32_e32 v5, v10, v5
	s_andn2_b64 vcc, exec, s[42:43]
	s_waitcnt lgkmcnt(0)
	v_mul_lo_u32 v6, v5, s44
	s_cbranch_vccnz .LBB9_43
; %bb.42:                               ;   in Loop: Header=BB9_9 Depth=1
	v_mul_hi_u32 v5, s8, v0
	v_add_u32_e32 v5, v0, v5
	v_lshrrev_b32_e32 v5, s14, v5
	v_mul_lo_u32 v5, v5, s12
	v_sub_u32_e32 v0, v0, v5
	v_mad_u64_u32 v[6:7], s[0:1], v0, s45, v[6:7]
.LBB9_43:                               ;   in Loop: Header=BB9_9 Depth=1
	s_cbranch_execz .LBB9_45
	s_branch .LBB9_54
.LBB9_44:                               ;   in Loop: Header=BB9_9 Depth=1
                                        ; implicit-def: $vgpr6
.LBB9_45:                               ;   in Loop: Header=BB9_9 Depth=1
	s_andn2_b64 vcc, exec, s[38:39]
	s_cbranch_vccnz .LBB9_53
; %bb.46:                               ;   in Loop: Header=BB9_9 Depth=1
	s_mov_b32 s2, 0
	s_andn2_b64 vcc, exec, s[46:47]
	v_mov_b32_e32 v6, 0
	s_cbranch_vccnz .LBB9_50
; %bb.47:                               ;   in Loop: Header=BB9_9 Depth=1
	s_mov_b32 s76, 0
	v_mov_b32_e32 v6, 0
	s_mov_b64 s[54:55], s[34:35]
	s_mov_b64 s[56:57], s[40:41]
.LBB9_48:                               ;   Parent Loop BB9_9 Depth=1
                                        ; =>  This Inner Loop Header: Depth=2
	s_load_dwordx8 s[0:7], s[54:55], 0x4
	s_load_dwordx4 s[24:27], s[54:55], 0x24
	s_load_dwordx4 s[28:31], s[56:57], 0x0
	s_add_u32 s54, s54, 48
	s_addc_u32 s55, s55, 0
	s_waitcnt lgkmcnt(0)
	v_mul_hi_u32 v0, s1, v10
	v_add_u32_e32 v0, v10, v0
	v_lshrrev_b32_e32 v0, s2, v0
	v_mul_hi_u32 v7, s4, v0
	v_add_u32_e32 v7, v0, v7
	v_mul_lo_u32 v5, v0, s0
	v_lshrrev_b32_e32 v7, s5, v7
	v_sub_u32_e32 v5, v10, v5
	v_mul_lo_u32 v10, v7, s3
	v_mul_hi_u32 v11, s7, v7
	v_sub_u32_e32 v0, v0, v10
	v_add_u32_e32 v10, v7, v11
	v_mul_lo_u32 v5, v5, s28
	v_mul_lo_u32 v0, v0, s29
	v_lshrrev_b32_e32 v11, s24, v10
	v_add3_u32 v0, v5, v6, v0
	v_mul_hi_u32 v6, s26, v11
	v_add_u32_e32 v6, v11, v6
	v_lshrrev_b32_e32 v10, s27, v6
	s_add_i32 s76, s76, 4
	v_mul_lo_u32 v5, v11, s6
	v_mul_lo_u32 v6, v10, s25
	s_add_u32 s56, s56, 16
	v_sub_u32_e32 v5, v7, v5
	v_sub_u32_e32 v6, v11, v6
	s_addc_u32 s57, s57, 0
	v_mul_lo_u32 v5, v5, s30
	v_mul_lo_u32 v6, v6, s31
	s_cmp_eq_u32 s15, s76
	v_add3_u32 v6, v5, v0, v6
	s_cbranch_scc0 .LBB9_48
; %bb.49:                               ;   in Loop: Header=BB9_9 Depth=1
	s_mov_b32 s2, s15
.LBB9_50:                               ;   in Loop: Header=BB9_9 Depth=1
	s_andn2_b64 vcc, exec, s[50:51]
	s_cbranch_vccnz .LBB9_54
; %bb.51:                               ;   in Loop: Header=BB9_9 Depth=1
	s_lshl_b32 s0, s2, 2
	s_add_u32 s0, s40, s0
	s_addc_u32 s1, s41, 0
	s_mul_i32 s2, s2, 12
	s_add_u32 s2, s34, s2
	s_addc_u32 s3, s35, 0
	s_mov_b32 s4, s13
.LBB9_52:                               ;   Parent Loop BB9_9 Depth=1
                                        ; =>  This Inner Loop Header: Depth=2
	s_load_dwordx2 s[6:7], s[2:3], 0x4
	s_load_dword s5, s[2:3], 0xc
	s_load_dword s24, s[0:1], 0x0
	s_add_u32 s2, s2, 12
	s_addc_u32 s3, s3, 0
	s_waitcnt lgkmcnt(0)
	v_mul_hi_u32 v0, s7, v10
	v_add_u32_e32 v0, v10, v0
	v_lshrrev_b32_e32 v0, s5, v0
	s_add_u32 s0, s0, 4
	v_mul_lo_u32 v5, v0, s6
	s_addc_u32 s1, s1, 0
	s_add_i32 s4, s4, -1
	v_sub_u32_e32 v5, v10, v5
	s_cmp_eq_u32 s4, 0
	v_mov_b32_e32 v10, v0
	v_mad_u64_u32 v[6:7], s[6:7], v5, s24, v[6:7]
	s_cbranch_scc0 .LBB9_52
	s_branch .LBB9_54
.LBB9_53:                               ;   in Loop: Header=BB9_9 Depth=1
	v_mov_b32_e32 v6, 0
.LBB9_54:                               ;   in Loop: Header=BB9_9 Depth=1
	v_lshrrev_b32_e32 v0, 11, v9
	v_cvt_f64_u32_e32 v[10:11], v0
	v_ldexp_f64 v[10:11], v[10:11], 32
	v_cvt_f64_u32_e32 v[8:9], v8
	v_add_f64 v[8:9], v[10:11], v[8:9]
	v_mov_b32_e32 v10, 0
	v_mov_b32_e32 v11, 0x3ca00000
	v_fmac_f64_e32 v[10:11], 0x3ca00000, v[8:9]
	v_cvt_f32_f64_e32 v0, v[10:11]
	v_cmp_nlt_f32_e32 vcc, s62, v0
	v_cndmask_b32_e32 v0, v40, v0, vcc
	v_cmp_ngt_f32_e32 vcc, s63, v0
	v_cndmask_b32_e32 v0, v41, v0, vcc
	v_add_f32_e32 v0, -0.5, v0
	v_mul_f32_e32 v5, 0x40490fdb, v0
	v_and_b32_e32 v7, 0x7fffffff, v5
	v_cmp_nlt_f32_e64 s[0:1], |v5|, s64
                                        ; implicit-def: $vgpr8
                                        ; implicit-def: $vgpr0
	s_and_saveexec_b64 s[2:3], s[0:1]
	s_xor_b64 s[6:7], exec, s[2:3]
	s_cbranch_execz .LBB9_56
; %bb.55:                               ;   in Loop: Header=BB9_9 Depth=1
	v_lshrrev_b32_e32 v0, 23, v7
	v_add_u32_e32 v0, 0xffffff88, v0
	v_cmp_lt_u32_e32 vcc, 63, v0
	v_cndmask_b32_e32 v8, 0, v42, vcc
	v_add_u32_e32 v0, v8, v0
	v_cmp_lt_u32_e64 s[0:1], 31, v0
	v_cndmask_b32_e64 v8, 0, v43, s[0:1]
	v_add_u32_e32 v0, v8, v0
	v_cmp_lt_u32_e64 s[2:3], 31, v0
	v_cndmask_b32_e64 v8, 0, v43, s[2:3]
	v_add_u32_e32 v17, v8, v0
	v_and_b32_e32 v0, 0x7fffff, v7
	v_or_b32_e32 v47, 0x800000, v0
	v_mad_u64_u32 v[8:9], s[4:5], v47, s65, 0
	v_mov_b32_e32 v0, v9
	v_mad_u64_u32 v[10:11], s[4:5], v47, s66, v[0:1]
	v_mov_b32_e32 v0, v11
	;; [unrolled: 2-line block ×6, first 2 shown]
	v_mad_u64_u32 v[56:57], s[4:5], v47, s71, v[0:1]
	v_cndmask_b32_e32 v9, v54, v50, vcc
	v_cndmask_b32_e32 v0, v56, v52, vcc
	;; [unrolled: 1-line block ×3, first 2 shown]
	v_cndmask_b32_e64 v11, v0, v9, s[0:1]
	v_cndmask_b32_e64 v0, v47, v0, s[0:1]
	v_cndmask_b32_e32 v47, v52, v48, vcc
	v_cndmask_b32_e64 v9, v9, v47, s[0:1]
	v_cndmask_b32_e64 v0, v0, v11, s[2:3]
	;; [unrolled: 1-line block ×3, first 2 shown]
	v_sub_u32_e32 v49, 32, v17
	v_alignbit_b32 v51, v0, v11, v49
	v_cmp_eq_u32_e64 s[4:5], 0, v17
	v_cndmask_b32_e64 v17, v51, v0, s[4:5]
	v_cndmask_b32_e32 v0, v50, v10, vcc
	v_cndmask_b32_e64 v10, v47, v0, s[0:1]
	v_cndmask_b32_e64 v9, v9, v10, s[2:3]
	v_alignbit_b32 v47, v11, v9, v49
	v_cndmask_b32_e64 v11, v47, v11, s[4:5]
	v_bfe_u32 v51, v17, 29, 1
	v_cndmask_b32_e32 v8, v48, v8, vcc
	v_alignbit_b32 v47, v17, v11, 30
	v_sub_u32_e32 v52, 0, v51
	v_cndmask_b32_e64 v0, v0, v8, s[0:1]
	v_xor_b32_e32 v53, v47, v52
	v_cndmask_b32_e64 v0, v10, v0, s[2:3]
	v_alignbit_b32 v8, v9, v0, v49
	v_ffbh_u32_e32 v10, v53
	v_cndmask_b32_e64 v8, v8, v9, s[4:5]
	v_add_u32_e32 v10, 1, v10
	v_cmp_ne_u32_e32 vcc, v47, v52
	v_alignbit_b32 v9, v11, v8, 30
	v_cndmask_b32_e32 v10, 33, v10, vcc
	v_alignbit_b32 v0, v8, v0, 30
	v_xor_b32_e32 v9, v9, v52
	v_sub_u32_e32 v11, 32, v10
	v_xor_b32_e32 v0, v0, v52
	v_alignbit_b32 v47, v53, v9, v11
	v_alignbit_b32 v0, v9, v0, v11
	;; [unrolled: 1-line block ×3, first 2 shown]
	v_ffbh_u32_e32 v9, v8
	v_min_u32_e32 v9, 32, v9
	v_lshrrev_b32_e32 v50, 29, v17
	v_sub_u32_e32 v11, 31, v9
	v_alignbit_b32 v0, v8, v0, v11
	v_lshlrev_b32_e32 v8, 31, v50
	v_or_b32_e32 v11, 0x33800000, v8
	v_add_lshl_u32 v9, v9, v10, 23
	v_lshrrev_b32_e32 v0, 9, v0
	v_sub_u32_e32 v9, v11, v9
	v_or_b32_e32 v0, v9, v0
	v_alignbit_b32 v9, v10, v47, 9
	v_or_b32_e32 v8, v9, v8
	v_xor_b32_e32 v8, 1.0, v8
	v_mul_f32_e32 v9, 0x3fc90fda, v8
	v_fma_f32 v10, v8, s72, -v9
	v_fmac_f32_e32 v10, 0x33a22168, v8
	v_fmac_f32_e32 v10, 0x3fc90fda, v0
	v_lshrrev_b32_e32 v8, 30, v17
	v_add_f32_e32 v0, v9, v10
	v_add_u32_e32 v8, v51, v8
.LBB9_56:                               ;   in Loop: Header=BB9_9 Depth=1
	s_andn2_saveexec_b64 s[0:1], s[6:7]
	s_cbranch_execz .LBB9_7
; %bb.57:                               ;   in Loop: Header=BB9_9 Depth=1
	v_mul_f32_e64 v0, |v5|, s73
	v_rndne_f32_e32 v9, v0
	v_cvt_i32_f32_e32 v8, v9
	v_fma_f32 v0, v9, s74, |v5|
	v_fmac_f32_e32 v0, 0xb3a22168, v9
	v_fmac_f32_e32 v0, 0xa7c234c4, v9
	s_branch .LBB9_7
.LBB9_58:
	s_endpgm
.LBB9_59:
                                        ; implicit-def: $sgpr2_sgpr3
	s_andn2_b64 vcc, exec, s[0:1]
	s_cbranch_vccz .LBB9_4
	s_branch .LBB9_5
	.section	.rodata,"a",@progbits
	.p2align	6, 0x0
	.amdhsa_kernel _ZN2at6native12_GLOBAL__N_143distribution_elementwise_grid_stride_kernelIfLi4EZNS0_9templates4cuda21uniform_and_transformIN3c104HalfEfPNS_17CUDAGeneratorImplEZZZNS4_13cauchy_kernelIS9_EEvRNS_18TensorIteratorBaseEddT_ENKUlvE_clEvENKUlvE1_clEvEUlfE_EEvSC_T1_T2_EUlP25hiprandStatePhilox4_32_10E_ZNS1_27distribution_nullary_kernelIS7_f15HIP_vector_typeIdLj2EES9_SL_SG_EEvSC_SI_RKT3_T4_EUlifE0_EEvlNS_15PhiloxCudaStateESH_SI_
		.amdhsa_group_segment_fixed_size 0
		.amdhsa_private_segment_fixed_size 0
		.amdhsa_kernarg_size 584
		.amdhsa_user_sgpr_count 6
		.amdhsa_user_sgpr_private_segment_buffer 1
		.amdhsa_user_sgpr_dispatch_ptr 0
		.amdhsa_user_sgpr_queue_ptr 0
		.amdhsa_user_sgpr_kernarg_segment_ptr 1
		.amdhsa_user_sgpr_dispatch_id 0
		.amdhsa_user_sgpr_flat_scratch_init 0
		.amdhsa_user_sgpr_kernarg_preload_length 0
		.amdhsa_user_sgpr_kernarg_preload_offset 0
		.amdhsa_user_sgpr_private_segment_size 0
		.amdhsa_uses_dynamic_stack 0
		.amdhsa_system_sgpr_private_segment_wavefront_offset 0
		.amdhsa_system_sgpr_workgroup_id_x 1
		.amdhsa_system_sgpr_workgroup_id_y 0
		.amdhsa_system_sgpr_workgroup_id_z 0
		.amdhsa_system_sgpr_workgroup_info 0
		.amdhsa_system_vgpr_workitem_id 0
		.amdhsa_next_free_vgpr 62
		.amdhsa_next_free_sgpr 77
		.amdhsa_accum_offset 64
		.amdhsa_reserve_vcc 1
		.amdhsa_reserve_flat_scratch 0
		.amdhsa_float_round_mode_32 0
		.amdhsa_float_round_mode_16_64 0
		.amdhsa_float_denorm_mode_32 3
		.amdhsa_float_denorm_mode_16_64 3
		.amdhsa_dx10_clamp 1
		.amdhsa_ieee_mode 1
		.amdhsa_fp16_overflow 0
		.amdhsa_tg_split 0
		.amdhsa_exception_fp_ieee_invalid_op 0
		.amdhsa_exception_fp_denorm_src 0
		.amdhsa_exception_fp_ieee_div_zero 0
		.amdhsa_exception_fp_ieee_overflow 0
		.amdhsa_exception_fp_ieee_underflow 0
		.amdhsa_exception_fp_ieee_inexact 0
		.amdhsa_exception_int_div_zero 0
	.end_amdhsa_kernel
	.section	.text._ZN2at6native12_GLOBAL__N_143distribution_elementwise_grid_stride_kernelIfLi4EZNS0_9templates4cuda21uniform_and_transformIN3c104HalfEfPNS_17CUDAGeneratorImplEZZZNS4_13cauchy_kernelIS9_EEvRNS_18TensorIteratorBaseEddT_ENKUlvE_clEvENKUlvE1_clEvEUlfE_EEvSC_T1_T2_EUlP25hiprandStatePhilox4_32_10E_ZNS1_27distribution_nullary_kernelIS7_f15HIP_vector_typeIdLj2EES9_SL_SG_EEvSC_SI_RKT3_T4_EUlifE0_EEvlNS_15PhiloxCudaStateESH_SI_,"axG",@progbits,_ZN2at6native12_GLOBAL__N_143distribution_elementwise_grid_stride_kernelIfLi4EZNS0_9templates4cuda21uniform_and_transformIN3c104HalfEfPNS_17CUDAGeneratorImplEZZZNS4_13cauchy_kernelIS9_EEvRNS_18TensorIteratorBaseEddT_ENKUlvE_clEvENKUlvE1_clEvEUlfE_EEvSC_T1_T2_EUlP25hiprandStatePhilox4_32_10E_ZNS1_27distribution_nullary_kernelIS7_f15HIP_vector_typeIdLj2EES9_SL_SG_EEvSC_SI_RKT3_T4_EUlifE0_EEvlNS_15PhiloxCudaStateESH_SI_,comdat
.Lfunc_end9:
	.size	_ZN2at6native12_GLOBAL__N_143distribution_elementwise_grid_stride_kernelIfLi4EZNS0_9templates4cuda21uniform_and_transformIN3c104HalfEfPNS_17CUDAGeneratorImplEZZZNS4_13cauchy_kernelIS9_EEvRNS_18TensorIteratorBaseEddT_ENKUlvE_clEvENKUlvE1_clEvEUlfE_EEvSC_T1_T2_EUlP25hiprandStatePhilox4_32_10E_ZNS1_27distribution_nullary_kernelIS7_f15HIP_vector_typeIdLj2EES9_SL_SG_EEvSC_SI_RKT3_T4_EUlifE0_EEvlNS_15PhiloxCudaStateESH_SI_, .Lfunc_end9-_ZN2at6native12_GLOBAL__N_143distribution_elementwise_grid_stride_kernelIfLi4EZNS0_9templates4cuda21uniform_and_transformIN3c104HalfEfPNS_17CUDAGeneratorImplEZZZNS4_13cauchy_kernelIS9_EEvRNS_18TensorIteratorBaseEddT_ENKUlvE_clEvENKUlvE1_clEvEUlfE_EEvSC_T1_T2_EUlP25hiprandStatePhilox4_32_10E_ZNS1_27distribution_nullary_kernelIS7_f15HIP_vector_typeIdLj2EES9_SL_SG_EEvSC_SI_RKT3_T4_EUlifE0_EEvlNS_15PhiloxCudaStateESH_SI_
                                        ; -- End function
	.section	.AMDGPU.csdata,"",@progbits
; Kernel info:
; codeLenInByte = 4984
; NumSgprs: 81
; NumVgprs: 62
; NumAgprs: 0
; TotalNumVgprs: 62
; ScratchSize: 0
; MemoryBound: 0
; FloatMode: 240
; IeeeMode: 1
; LDSByteSize: 0 bytes/workgroup (compile time only)
; SGPRBlocks: 10
; VGPRBlocks: 7
; NumSGPRsForWavesPerEU: 81
; NumVGPRsForWavesPerEU: 62
; AccumOffset: 64
; Occupancy: 8
; WaveLimiterHint : 1
; COMPUTE_PGM_RSRC2:SCRATCH_EN: 0
; COMPUTE_PGM_RSRC2:USER_SGPR: 6
; COMPUTE_PGM_RSRC2:TRAP_HANDLER: 0
; COMPUTE_PGM_RSRC2:TGID_X_EN: 1
; COMPUTE_PGM_RSRC2:TGID_Y_EN: 0
; COMPUTE_PGM_RSRC2:TGID_Z_EN: 0
; COMPUTE_PGM_RSRC2:TIDIG_COMP_CNT: 0
; COMPUTE_PGM_RSRC3_GFX90A:ACCUM_OFFSET: 15
; COMPUTE_PGM_RSRC3_GFX90A:TG_SPLIT: 0
	.section	.text._ZN2at6native12_GLOBAL__N_143distribution_elementwise_grid_stride_kernelIfLi4EZNS0_9templates4cuda21uniform_and_transformIN3c104HalfEfPNS_17CUDAGeneratorImplEZZZNS4_13cauchy_kernelIS9_EEvRNS_18TensorIteratorBaseEddT_ENKUlvE_clEvENKUlvE1_clEvEUlfE_EEvSC_T1_T2_EUlP25hiprandStatePhilox4_32_10E0_ZNS1_27distribution_nullary_kernelIS7_f15HIP_vector_typeIfLj4EES9_SL_SG_EEvSC_SI_RKT3_T4_EUlifE_EEvlNS_15PhiloxCudaStateESH_SI_,"axG",@progbits,_ZN2at6native12_GLOBAL__N_143distribution_elementwise_grid_stride_kernelIfLi4EZNS0_9templates4cuda21uniform_and_transformIN3c104HalfEfPNS_17CUDAGeneratorImplEZZZNS4_13cauchy_kernelIS9_EEvRNS_18TensorIteratorBaseEddT_ENKUlvE_clEvENKUlvE1_clEvEUlfE_EEvSC_T1_T2_EUlP25hiprandStatePhilox4_32_10E0_ZNS1_27distribution_nullary_kernelIS7_f15HIP_vector_typeIfLj4EES9_SL_SG_EEvSC_SI_RKT3_T4_EUlifE_EEvlNS_15PhiloxCudaStateESH_SI_,comdat
	.globl	_ZN2at6native12_GLOBAL__N_143distribution_elementwise_grid_stride_kernelIfLi4EZNS0_9templates4cuda21uniform_and_transformIN3c104HalfEfPNS_17CUDAGeneratorImplEZZZNS4_13cauchy_kernelIS9_EEvRNS_18TensorIteratorBaseEddT_ENKUlvE_clEvENKUlvE1_clEvEUlfE_EEvSC_T1_T2_EUlP25hiprandStatePhilox4_32_10E0_ZNS1_27distribution_nullary_kernelIS7_f15HIP_vector_typeIfLj4EES9_SL_SG_EEvSC_SI_RKT3_T4_EUlifE_EEvlNS_15PhiloxCudaStateESH_SI_ ; -- Begin function _ZN2at6native12_GLOBAL__N_143distribution_elementwise_grid_stride_kernelIfLi4EZNS0_9templates4cuda21uniform_and_transformIN3c104HalfEfPNS_17CUDAGeneratorImplEZZZNS4_13cauchy_kernelIS9_EEvRNS_18TensorIteratorBaseEddT_ENKUlvE_clEvENKUlvE1_clEvEUlfE_EEvSC_T1_T2_EUlP25hiprandStatePhilox4_32_10E0_ZNS1_27distribution_nullary_kernelIS7_f15HIP_vector_typeIfLj4EES9_SL_SG_EEvSC_SI_RKT3_T4_EUlifE_EEvlNS_15PhiloxCudaStateESH_SI_
	.p2align	8
	.type	_ZN2at6native12_GLOBAL__N_143distribution_elementwise_grid_stride_kernelIfLi4EZNS0_9templates4cuda21uniform_and_transformIN3c104HalfEfPNS_17CUDAGeneratorImplEZZZNS4_13cauchy_kernelIS9_EEvRNS_18TensorIteratorBaseEddT_ENKUlvE_clEvENKUlvE1_clEvEUlfE_EEvSC_T1_T2_EUlP25hiprandStatePhilox4_32_10E0_ZNS1_27distribution_nullary_kernelIS7_f15HIP_vector_typeIfLj4EES9_SL_SG_EEvSC_SI_RKT3_T4_EUlifE_EEvlNS_15PhiloxCudaStateESH_SI_,@function
_ZN2at6native12_GLOBAL__N_143distribution_elementwise_grid_stride_kernelIfLi4EZNS0_9templates4cuda21uniform_and_transformIN3c104HalfEfPNS_17CUDAGeneratorImplEZZZNS4_13cauchy_kernelIS9_EEvRNS_18TensorIteratorBaseEddT_ENKUlvE_clEvENKUlvE1_clEvEUlfE_EEvSC_T1_T2_EUlP25hiprandStatePhilox4_32_10E0_ZNS1_27distribution_nullary_kernelIS7_f15HIP_vector_typeIfLj4EES9_SL_SG_EEvSC_SI_RKT3_T4_EUlifE_EEvlNS_15PhiloxCudaStateESH_SI_: ; @_ZN2at6native12_GLOBAL__N_143distribution_elementwise_grid_stride_kernelIfLi4EZNS0_9templates4cuda21uniform_and_transformIN3c104HalfEfPNS_17CUDAGeneratorImplEZZZNS4_13cauchy_kernelIS9_EEvRNS_18TensorIteratorBaseEddT_ENKUlvE_clEvENKUlvE1_clEvEUlfE_EEvSC_T1_T2_EUlP25hiprandStatePhilox4_32_10E0_ZNS1_27distribution_nullary_kernelIS7_f15HIP_vector_typeIfLj4EES9_SL_SG_EEvSC_SI_RKT3_T4_EUlifE_EEvlNS_15PhiloxCudaStateESH_SI_
; %bb.0:
	s_load_dword s2, s[4:5], 0x20
	s_load_dwordx2 s[0:1], s[4:5], 0x10
	s_load_dwordx4 s[8:11], s[4:5], 0x0
	s_waitcnt lgkmcnt(0)
	s_bitcmp0_b32 s2, 0
	s_mov_b32 s2, 0
	v_pk_mov_b32 v[2:3], s[0:1], s[0:1] op_sel:[0,1]
	v_pk_mov_b32 v[12:13], s[10:11], s[10:11] op_sel:[0,1]
	s_cbranch_scc1 .LBB10_2
; %bb.1:
	v_pk_mov_b32 v[2:3], s[0:1], s[0:1] op_sel:[0,1]
	flat_load_dwordx2 v[2:3], v[2:3]
	v_pk_mov_b32 v[4:5], s[10:11], s[10:11] op_sel:[0,1]
	flat_load_dwordx2 v[12:13], v[4:5]
	s_load_dwordx2 s[0:1], s[4:5], 0x18
	s_waitcnt lgkmcnt(0)
	v_mov_b32_e32 v1, s1
	s_waitcnt vmcnt(0)
	v_add_co_u32_e32 v2, vcc, s0, v2
	v_addc_co_u32_e32 v3, vcc, v3, v1, vcc
.LBB10_2:
	s_load_dword s0, s[4:5], 0x54
	s_load_dword s18, s[4:5], 0x48
	s_waitcnt lgkmcnt(0)
	s_and_b32 s7, s0, 0xffff
	s_add_u32 s10, s8, -1
	s_mul_i32 s22, s18, s7
	s_addc_u32 s3, s9, -1
	s_lshl_b32 s23, s22, 2
	s_cmp_lg_u64 s[2:3], 0
	s_mov_b64 s[0:1], -1
	s_cbranch_scc0 .LBB10_43
; %bb.3:
	v_cvt_f32_u32_e32 v1, s23
	v_cvt_f32_ubyte0_e32 v4, 0
	s_sub_u32 s2, 0, s23
	s_subb_u32 s11, 0, 0
	v_madmk_f32 v1, v4, 0x4f800000, v1
	v_rcp_f32_e32 v1, v1
	v_mul_f32_e32 v1, 0x5f7ffffc, v1
	v_mul_f32_e32 v4, 0x2f800000, v1
	v_trunc_f32_e32 v4, v4
	v_madmk_f32 v1, v4, 0xcf800000, v1
	v_cvt_u32_f32_e32 v4, v4
	v_cvt_u32_f32_e32 v1, v1
	v_readfirstlane_b32 s12, v4
	v_readfirstlane_b32 s13, v1
	s_mul_i32 s14, s2, s12
	s_mul_hi_u32 s16, s2, s13
	s_mul_i32 s15, s11, s13
	s_add_i32 s14, s16, s14
	s_add_i32 s14, s14, s15
	s_mul_i32 s17, s2, s13
	s_mul_hi_u32 s15, s13, s14
	s_mul_i32 s16, s13, s14
	s_mul_hi_u32 s13, s13, s17
	s_add_u32 s13, s13, s16
	s_addc_u32 s15, 0, s15
	s_mul_hi_u32 s19, s12, s17
	s_mul_i32 s17, s12, s17
	s_add_u32 s13, s13, s17
	s_mul_hi_u32 s16, s12, s14
	s_addc_u32 s13, s15, s19
	s_addc_u32 s15, s16, 0
	s_mul_i32 s14, s12, s14
	s_add_u32 s13, s13, s14
	s_addc_u32 s14, 0, s15
	v_add_co_u32_e32 v1, vcc, s13, v1
	s_cmp_lg_u64 vcc, 0
	s_addc_u32 s12, s12, s14
	v_readfirstlane_b32 s14, v1
	s_mul_i32 s13, s2, s12
	s_mul_hi_u32 s15, s2, s14
	s_add_i32 s13, s15, s13
	s_mul_i32 s11, s11, s14
	s_add_i32 s13, s13, s11
	s_mul_i32 s2, s2, s14
	s_mul_hi_u32 s15, s12, s2
	s_mul_i32 s16, s12, s2
	s_mul_i32 s19, s14, s13
	s_mul_hi_u32 s2, s14, s2
	s_mul_hi_u32 s17, s14, s13
	s_add_u32 s2, s2, s19
	s_addc_u32 s14, 0, s17
	s_add_u32 s2, s2, s16
	s_mul_hi_u32 s11, s12, s13
	s_addc_u32 s2, s14, s15
	s_addc_u32 s11, s11, 0
	s_mul_i32 s13, s12, s13
	s_add_u32 s2, s2, s13
	s_addc_u32 s11, 0, s11
	v_add_co_u32_e32 v1, vcc, s2, v1
	s_cmp_lg_u64 vcc, 0
	s_addc_u32 s11, s12, s11
	s_ashr_i32 s12, s3, 31
	s_add_u32 s2, s10, s12
	s_mov_b32 s13, s12
	s_addc_u32 s3, s3, s12
	s_xor_b64 s[2:3], s[2:3], s[12:13]
	v_readfirstlane_b32 s16, v1
	s_mul_i32 s15, s2, s11
	s_mul_hi_u32 s17, s2, s16
	s_mul_hi_u32 s14, s2, s11
	s_add_u32 s15, s17, s15
	s_addc_u32 s14, 0, s14
	s_mul_hi_u32 s19, s3, s16
	s_mul_i32 s16, s3, s16
	s_add_u32 s15, s15, s16
	s_mul_hi_u32 s17, s3, s11
	s_addc_u32 s14, s14, s19
	s_addc_u32 s15, s17, 0
	s_mul_i32 s11, s3, s11
	s_add_u32 s11, s14, s11
	s_addc_u32 s14, 0, s15
	s_add_u32 s15, s11, 1
	s_addc_u32 s16, s14, 0
	s_add_u32 s17, s11, 2
	s_mul_i32 s20, s23, s14
	s_mul_hi_u32 s21, s23, s11
	s_addc_u32 s19, s14, 0
	s_add_i32 s21, s21, s20
	s_mul_i32 s20, s23, s11
	v_mov_b32_e32 v1, s20
	v_sub_co_u32_e32 v1, vcc, s2, v1
	s_cmp_lg_u64 vcc, 0
	s_subb_u32 s2, s3, s21
	v_subrev_co_u32_e32 v4, vcc, s23, v1
	s_cmp_lg_u64 vcc, 0
	s_subb_u32 s3, s2, 0
	v_readfirstlane_b32 s20, v4
	s_cmp_ge_u32 s20, s23
	s_cselect_b32 s20, -1, 0
	s_cmp_eq_u32 s3, 0
	s_cselect_b32 s3, s20, -1
	s_cmp_lg_u32 s3, 0
	s_cselect_b32 s3, s19, s16
	v_readfirstlane_b32 s16, v1
	s_cselect_b32 s15, s17, s15
	s_cmp_ge_u32 s16, s23
	s_cselect_b32 s16, -1, 0
	s_cmp_eq_u32 s2, 0
	s_cselect_b32 s2, s16, -1
	s_cmp_lg_u32 s2, 0
	s_cselect_b32 s3, s3, s14
	s_cselect_b32 s2, s15, s11
	s_xor_b64 s[2:3], s[2:3], s[12:13]
	s_sub_u32 s2, s2, s12
	s_subb_u32 s3, s3, s12
	s_cbranch_execnz .LBB10_5
.LBB10_4:
	v_cvt_f32_u32_e32 v1, s23
	s_sub_i32 s0, 0, s23
	s_mov_b32 s3, 0
	v_rcp_iflag_f32_e32 v1, v1
	v_mul_f32_e32 v1, 0x4f7ffffe, v1
	v_cvt_u32_f32_e32 v1, v1
	v_readfirstlane_b32 s1, v1
	s_mul_i32 s0, s0, s1
	s_mul_hi_u32 s0, s1, s0
	s_add_i32 s1, s1, s0
	s_mul_hi_u32 s0, s10, s1
	s_mul_i32 s2, s0, s23
	s_sub_i32 s2, s10, s2
	s_add_i32 s1, s0, 1
	s_sub_i32 s10, s2, s23
	s_cmp_ge_u32 s2, s23
	s_cselect_b32 s0, s1, s0
	s_cselect_b32 s2, s10, s2
	s_add_i32 s1, s0, 1
	s_cmp_ge_u32 s2, s23
	s_cselect_b32 s2, s1, s0
.LBB10_5:
	v_mov_b32_e32 v1, 0
	v_mov_b32_e32 v4, s6
	v_mad_u64_u32 v[14:15], s[0:1], s7, v4, v[0:1]
	s_add_u32 s0, s2, 1
	s_addc_u32 s1, s3, 0
	s_mul_hi_u32 s2, s18, s7
	s_mul_i32 s1, s22, s1
	s_mul_hi_u32 s3, s22, s0
	s_add_i32 s1, s3, s1
	s_mul_i32 s2, s2, s0
	s_add_i32 s1, s1, s2
	s_mul_i32 s0, s22, s0
	s_lshl_b64 s[10:11], s[0:1], 2
	v_cmp_gt_i64_e32 vcc, s[10:11], v[14:15]
	s_and_saveexec_b64 s[0:1], vcc
	s_cbranch_execz .LBB10_42
; %bb.6:
	s_mov_b32 s0, 0x5384540f
	v_mov_b32_e32 v4, v13
	v_add_co_u32_e32 v22, vcc, s0, v12
	s_mov_b32 s0, 0x646e171e
	v_add_co_u32_e32 v23, vcc, s0, v4
	s_mov_b32 s0, 0x1715609d
	;; [unrolled: 2-line block ×6, first 2 shown]
	v_alignbit_b32 v29, v3, v2, 2
	s_mov_b32 s24, 0xd2511f53
	v_add_co_u32_e32 v28, vcc, s0, v12
	v_mad_u64_u32 v[6:7], s[0:1], v29, s24, 0
	v_and_b32_e32 v18, 3, v2
	v_xor_b32_e32 v2, v7, v13
	v_xor_b32_e32 v2, v2, v15
	s_mov_b32 s25, 0xcd9e8d57
	v_mad_u64_u32 v[8:9], s[0:1], v2, s25, 0
	v_xor_b32_e32 v2, v28, v9
	v_mad_u64_u32 v[10:11], s[0:1], v14, s25, 0
	v_xor_b32_e32 v2, v2, v10
	;; [unrolled: 2-line block ×3, first 2 shown]
	v_lshrrev_b32_e32 v30, 2, v3
	v_xor_b32_e32 v2, v2, v30
	v_xor_b32_e32 v5, v27, v17
	v_mad_u64_u32 v[2:3], s[0:1], v2, s24, 0
	v_xor_b32_e32 v2, v5, v2
	v_mad_u64_u32 v[10:11], s[0:1], v2, s25, 0
	s_mov_b32 s0, 0xbb67ae85
	v_add_co_u32_e32 v31, vcc, s0, v4
	v_xor_b32_e32 v2, v31, v3
	v_xor_b32_e32 v2, v2, v6
	v_xor_b32_e32 v5, v26, v11
	v_mad_u64_u32 v[2:3], s[0:1], v2, s25, 0
	v_xor_b32_e32 v2, v5, v2
	v_mad_u64_u32 v[6:7], s[0:1], v2, s24, 0
	s_mov_b32 s0, 0x3c6ef372
	v_add_co_u32_e32 v32, vcc, s0, v12
	v_xor_b32_e32 v2, v32, v3
	;; [unrolled: 8-line block ×6, first 2 shown]
	v_add_co_u32_e32 v21, vcc, 0xdb3d7428, v4
	v_xor_b32_e32 v2, v2, v8
	v_xor_b32_e32 v5, v21, v41
	v_mad_u64_u32 v[2:3], s[0:1], v2, s24, 0
	v_xor_b32_e32 v2, v5, v2
	v_mad_u64_u32 v[42:43], s[0:1], v2, s25, 0
	s_mov_b32 s0, 0x1fd5c5a3
	v_add_co_u32_e32 v37, vcc, s0, v4
	v_xor_b32_e32 v2, v37, v3
	v_xor_b32_e32 v2, v2, v16
	v_mad_u64_u32 v[2:3], s[0:1], v2, s25, 0
	s_mov_b32 s0, 0xf1bbcdc8
	v_add_u32_e32 v19, 0x8ff34781, v12
	v_xor_b32_e32 v2, v43, v2
	v_add_co_u32_e32 v38, vcc, s0, v12
	s_load_dwordx4 s[12:15], s[4:5], 0x38
	s_load_dwordx2 s[16:17], s[4:5], 0x30
	v_xor_b32_e32 v6, v19, v2
	v_xor_b32_e32 v2, v38, v3
	;; [unrolled: 1-line block ×3, first 2 shown]
	v_mad_u64_u32 v[2:3], s[0:1], v2, s24, 0
	s_mul_i32 s0, s6, s7
	v_mov_b32_e32 v9, v2
	v_add_u32_e32 v2, s0, v0
	s_waitcnt lgkmcnt(0)
	s_mul_i32 s0, s18, s12
	s_mul_i32 s0, s0, s7
	s_lshl_b32 s30, s0, 2
	s_mul_i32 s0, s18, 3
	s_add_i32 s0, s6, s0
	s_mul_i32 s0, s0, s7
	v_mul_lo_u32 v39, s12, v2
	v_add_u32_e32 v2, s0, v0
	s_lshl_b32 s0, s18, 1
	s_add_i32 s0, s6, s0
	s_mul_i32 s0, s0, s7
	v_xor_b32_e32 v3, v3, v40
	v_mul_lo_u32 v40, s12, v2
	v_add_u32_e32 v2, s0, v0
	s_add_i32 s0, s6, s18
	s_mul_i32 s0, s0, s7
	s_mov_b32 s15, 0
	v_add_u32_e32 v20, 0x96a522ad, v13
	v_add_u32_e32 v0, s0, v0
	v_xor_b32_e32 v8, v20, v3
	v_mov_b32_e32 v7, v42
	s_lshl_b32 s26, s22, 1
	s_mov_b32 s27, s15
	s_mul_i32 s28, s22, 3
	s_mov_b32 s29, s15
	v_mul_lo_u32 v41, s12, v2
	v_mul_lo_u32 v42, s12, v0
	s_mov_b64 s[6:7], 0
	s_mov_b32 s12, 0x3f7ffffe
	s_brev_b32 s31, 44
	s_brev_b32 s33, 18
	s_mov_b32 s34, 0xfe5163ab
	s_mov_b32 s35, 0x3c439041
	;; [unrolled: 1-line block ×10, first 2 shown]
	v_mov_b32_e32 v43, 0x3f93f425
	s_movk_i32 s44, 0x1f8
	v_mov_b32_e32 v44, 0x3f7ffffe
	v_bfrev_b32_e32 v45, 44
	v_not_b32_e32 v46, 63
	v_not_b32_e32 v47, 31
	v_mov_b32_e32 v48, 0x7fc00000
	s_mov_b32 s45, s15
	v_mov_b32_e32 v49, v14
	v_mov_b32_e32 v50, v15
	s_branch .LBB10_9
.LBB10_7:                               ;   in Loop: Header=BB10_9 Depth=1
	s_or_b64 exec, exec, s[0:1]
	v_mul_f32_e32 v11, v0, v0
	v_mov_b32_e32 v17, 0xbf039337
	v_fmac_f32_e32 v17, 0x3c971480, v11
	v_fma_f32 v17, v11, v17, v43
	v_add_u32_e32 v8, s45, v40
	v_rcp_f32_e32 v17, v17
	v_ashrrev_i32_e32 v9, 31, v8
	v_mov_b32_e32 v10, s17
	v_add_co_u32_e32 v8, vcc, s16, v8
	v_addc_co_u32_e32 v9, vcc, v10, v9, vcc
	v_mov_b32_e32 v10, 0x3ec54587
	v_fmac_f32_e32 v10, 0xbc8cedd3, v11
	v_mul_f32_e32 v10, v10, v17
	v_mul_f32_e32 v10, v11, v10
	v_fma_f32 v11, v10, v0, v0
	v_rcp_f32_e32 v17, v11
	v_sub_f32_e32 v51, v11, v0
	v_fma_f32 v0, v10, v0, -v51
	v_and_b32_e32 v7, 1, v7
	v_fma_f32 v10, v11, -v17, 1.0
	v_fma_f32 v0, v0, -v17, v10
	v_fma_f32 v0, v0, -v17, -v17
	v_cmp_eq_u32_e32 vcc, 0, v7
	v_cndmask_b32_e32 v0, v0, v11, vcc
	v_xor_b32_e32 v6, v6, v5
	v_xor_b32_e32 v0, v6, v0
	v_cmp_class_f32_e64 vcc, v5, s44
	v_cndmask_b32_e32 v0, v48, v0, vcc
	v_mov_b32_e32 v5, s13
	v_fma_mixlo_f16 v0, s14, v0, v5
	global_store_short v[8:9], v0, off
.LBB10_8:                               ;   in Loop: Header=BB10_9 Depth=1
	s_or_b64 exec, exec, s[18:19]
	v_add_co_u32_e32 v14, vcc, s23, v14
	v_mov_b32_e32 v5, v16
	v_addc_co_u32_e32 v15, vcc, 0, v15, vcc
	s_add_i32 s45, s45, s30
	v_cmp_le_i64_e32 vcc, s[10:11], v[14:15]
	v_pk_mov_b32 v[8:9], v[4:5], v[4:5] op_sel:[0,1]
	s_or_b64 s[6:7], vcc, s[6:7]
	v_pk_mov_b32 v[6:7], v[2:3], v[2:3] op_sel:[0,1]
	s_barrier
	s_andn2_b64 exec, exec, s[6:7]
	s_cbranch_execz .LBB10_42
.LBB10_9:                               ; =>This Inner Loop Header: Depth=1
	v_add_co_u32_e32 v29, vcc, 1, v29
	v_cndmask_b32_e64 v0, 0, 1, vcc
	v_addc_co_u32_e32 v30, vcc, 0, v30, vcc
	v_cmp_eq_u32_e32 vcc, 0, v30
	v_cndmask_b32_e32 v0, 0, v0, vcc
	v_add_u32_e32 v49, v0, v49
	v_cmp_eq_u32_e32 vcc, 0, v49
	v_cndmask_b32_e32 v0, 0, v0, vcc
	v_mad_u64_u32 v[2:3], s[0:1], v29, s24, 0
	v_mad_u64_u32 v[4:5], s[0:1], v49, s25, 0
	v_add_u32_e32 v50, v0, v50
	v_xor_b32_e32 v0, v5, v12
	v_xor_b32_e32 v3, v3, v13
	v_xor_b32_e32 v0, v30, v0
	v_xor_b32_e32 v3, v50, v3
	v_mad_u64_u32 v[10:11], s[0:1], v0, s24, 0
	v_mad_u64_u32 v[16:17], s[0:1], v3, s25, 0
	v_xor_b32_e32 v0, v28, v17
	v_xor_b32_e32 v3, v31, v11
	v_xor_b32_e32 v0, v0, v4
	v_xor_b32_e32 v4, v3, v2
	v_mad_u64_u32 v[2:3], s[0:1], v0, s24, 0
	v_mad_u64_u32 v[4:5], s[0:1], v4, s25, 0
	;; [unrolled: 6-line block ×9, first 2 shown]
	v_xor_b32_e32 v0, v11, v2
	v_xor_b32_e32 v2, v19, v0
	;; [unrolled: 1-line block ×4, first 2 shown]
	v_mov_b32_e32 v3, v10
	v_mov_b32_e32 v4, v11
	v_cmp_lt_i32_e32 vcc, 1, v18
	s_and_saveexec_b64 s[0:1], vcc
	s_xor_b64 s[0:1], exec, s[0:1]
	s_cbranch_execnz .LBB10_12
; %bb.10:                               ;   in Loop: Header=BB10_9 Depth=1
	s_andn2_saveexec_b64 s[0:1], s[0:1]
	s_cbranch_execnz .LBB10_17
.LBB10_11:                              ;   in Loop: Header=BB10_9 Depth=1
	s_or_b64 exec, exec, s[0:1]
	v_cmp_gt_i64_e32 vcc, s[8:9], v[14:15]
	s_and_saveexec_b64 s[18:19], vcc
	s_cbranch_execnz .LBB10_20
	s_branch .LBB10_25
.LBB10_12:                              ;   in Loop: Header=BB10_9 Depth=1
	v_cmp_lt_i32_e32 vcc, 2, v18
	s_and_saveexec_b64 s[2:3], vcc
	s_xor_b64 s[2:3], exec, s[2:3]
; %bb.13:                               ;   in Loop: Header=BB10_9 Depth=1
	v_mov_b32_e32 v8, v9
	v_mov_b32_e32 v9, v2
	v_pk_mov_b32 v[6:7], v[8:9], v[8:9] op_sel:[0,1]
	v_pk_mov_b32 v[8:9], v[10:11], v[10:11] op_sel:[0,1]
                                        ; implicit-def: $vgpr10_vgpr11
; %bb.14:                               ;   in Loop: Header=BB10_9 Depth=1
	s_andn2_saveexec_b64 s[2:3], s[2:3]
; %bb.15:                               ;   in Loop: Header=BB10_9 Depth=1
	v_mov_b32_e32 v6, v8
	v_mov_b32_e32 v7, v9
	;; [unrolled: 1-line block ×4, first 2 shown]
; %bb.16:                               ;   in Loop: Header=BB10_9 Depth=1
	s_or_b64 exec, exec, s[2:3]
	s_andn2_saveexec_b64 s[0:1], s[0:1]
	s_cbranch_execz .LBB10_11
.LBB10_17:                              ;   in Loop: Header=BB10_9 Depth=1
	v_cmp_eq_u32_e32 vcc, 1, v18
	s_and_saveexec_b64 s[2:3], vcc
; %bb.18:                               ;   in Loop: Header=BB10_9 Depth=1
	v_mov_b32_e32 v6, v7
	v_mov_b32_e32 v7, v8
	;; [unrolled: 1-line block ×4, first 2 shown]
; %bb.19:                               ;   in Loop: Header=BB10_9 Depth=1
	s_or_b64 exec, exec, s[2:3]
	s_or_b64 exec, exec, s[0:1]
	v_cmp_gt_i64_e32 vcc, s[8:9], v[14:15]
	s_and_saveexec_b64 s[18:19], vcc
	s_cbranch_execz .LBB10_25
.LBB10_20:                              ;   in Loop: Header=BB10_9 Depth=1
	v_cvt_f32_u32_e32 v0, v6
	v_mov_b32_e32 v5, 0x2f800000
                                        ; implicit-def: $vgpr10
	v_fmac_f32_e32 v5, 0x2f800000, v0
	v_cmp_nlt_f32_e32 vcc, s12, v5
	v_cndmask_b32_e32 v0, v44, v5, vcc
	v_cmp_ngt_f32_e32 vcc, s31, v0
	v_cndmask_b32_e32 v0, v45, v0, vcc
	v_add_f32_e32 v0, -0.5, v0
	v_mul_f32_e32 v5, 0x40490fdb, v0
	v_and_b32_e32 v6, 0x7fffffff, v5
	v_cmp_nlt_f32_e64 s[0:1], |v5|, s33
                                        ; implicit-def: $vgpr0
	s_and_saveexec_b64 s[2:3], s[0:1]
	s_xor_b64 s[20:21], exec, s[2:3]
	s_cbranch_execz .LBB10_22
; %bb.21:                               ;   in Loop: Header=BB10_9 Depth=1
	v_lshrrev_b32_e32 v0, 23, v6
	v_add_u32_e32 v0, 0xffffff88, v0
	v_cmp_lt_u32_e32 vcc, 63, v0
	v_cndmask_b32_e32 v10, 0, v46, vcc
	v_add_u32_e32 v0, v10, v0
	v_cmp_lt_u32_e64 s[0:1], 31, v0
	v_cndmask_b32_e64 v10, 0, v47, s[0:1]
	v_add_u32_e32 v0, v10, v0
	v_cmp_lt_u32_e64 s[2:3], 31, v0
	v_cndmask_b32_e64 v10, 0, v47, s[2:3]
	v_add_u32_e32 v17, v10, v0
	v_and_b32_e32 v0, 0x7fffff, v6
	v_or_b32_e32 v51, 0x800000, v0
	v_mad_u64_u32 v[10:11], s[4:5], v51, s34, 0
	v_mov_b32_e32 v0, v11
	v_mad_u64_u32 v[52:53], s[4:5], v51, s35, v[0:1]
	v_mov_b32_e32 v0, v53
	;; [unrolled: 2-line block ×6, first 2 shown]
	v_mad_u64_u32 v[62:63], s[4:5], v51, s40, v[0:1]
	v_cndmask_b32_e32 v11, v60, v56, vcc
	v_cndmask_b32_e32 v0, v62, v58, vcc
	;; [unrolled: 1-line block ×3, first 2 shown]
	v_cndmask_b32_e64 v51, v0, v11, s[0:1]
	v_cndmask_b32_e64 v0, v53, v0, s[0:1]
	v_cndmask_b32_e32 v53, v58, v54, vcc
	v_cndmask_b32_e64 v11, v11, v53, s[0:1]
	v_cndmask_b32_e64 v0, v0, v51, s[2:3]
	;; [unrolled: 1-line block ×3, first 2 shown]
	v_sub_u32_e32 v55, 32, v17
	v_alignbit_b32 v57, v0, v51, v55
	v_cmp_eq_u32_e64 s[4:5], 0, v17
	v_cndmask_b32_e64 v17, v57, v0, s[4:5]
	v_cndmask_b32_e32 v0, v56, v52, vcc
	v_cndmask_b32_e64 v52, v53, v0, s[0:1]
	v_cndmask_b32_e64 v11, v11, v52, s[2:3]
	v_cndmask_b32_e32 v10, v54, v10, vcc
	v_alignbit_b32 v53, v51, v11, v55
	v_cndmask_b32_e64 v0, v0, v10, s[0:1]
	v_cndmask_b32_e64 v51, v53, v51, s[4:5]
	v_bfe_u32 v57, v17, 29, 1
	v_cndmask_b32_e64 v0, v52, v0, s[2:3]
	v_alignbit_b32 v53, v17, v51, 30
	v_sub_u32_e32 v58, 0, v57
	v_alignbit_b32 v10, v11, v0, v55
	v_xor_b32_e32 v59, v53, v58
	v_cndmask_b32_e64 v10, v10, v11, s[4:5]
	v_alignbit_b32 v11, v51, v10, 30
	v_ffbh_u32_e32 v51, v59
	v_add_u32_e32 v51, 1, v51
	v_cmp_ne_u32_e32 vcc, v53, v58
	v_cndmask_b32_e32 v51, 33, v51, vcc
	v_alignbit_b32 v0, v10, v0, 30
	v_xor_b32_e32 v11, v11, v58
	v_sub_u32_e32 v52, 32, v51
	v_xor_b32_e32 v0, v0, v58
	v_alignbit_b32 v53, v59, v11, v52
	v_alignbit_b32 v0, v11, v0, v52
	;; [unrolled: 1-line block ×3, first 2 shown]
	v_ffbh_u32_e32 v11, v10
	v_min_u32_e32 v11, 32, v11
	v_lshrrev_b32_e32 v56, 29, v17
	v_sub_u32_e32 v52, 31, v11
	v_alignbit_b32 v0, v10, v0, v52
	v_lshlrev_b32_e32 v10, 31, v56
	v_or_b32_e32 v52, 0x33800000, v10
	v_add_lshl_u32 v11, v11, v51, 23
	v_lshrrev_b32_e32 v0, 9, v0
	v_sub_u32_e32 v11, v52, v11
	v_or_b32_e32 v0, v11, v0
	v_alignbit_b32 v11, v51, v53, 9
	v_or_b32_e32 v10, v11, v10
	v_xor_b32_e32 v10, 1.0, v10
	v_mul_f32_e32 v11, 0x3fc90fda, v10
	v_fma_f32 v51, v10, s41, -v11
	v_fmac_f32_e32 v51, 0x33a22168, v10
	v_fmac_f32_e32 v51, 0x3fc90fda, v0
	v_lshrrev_b32_e32 v10, 30, v17
	v_add_f32_e32 v0, v11, v51
	v_add_u32_e32 v10, v57, v10
.LBB10_22:                              ;   in Loop: Header=BB10_9 Depth=1
	s_andn2_saveexec_b64 s[0:1], s[20:21]
; %bb.23:                               ;   in Loop: Header=BB10_9 Depth=1
	v_mul_f32_e64 v0, |v5|, s42
	v_rndne_f32_e32 v11, v0
	v_cvt_i32_f32_e32 v10, v11
	v_fma_f32 v0, v11, s43, |v5|
	v_fmac_f32_e32 v0, 0xb3a22168, v11
	v_fmac_f32_e32 v0, 0xa7c234c4, v11
; %bb.24:                               ;   in Loop: Header=BB10_9 Depth=1
	s_or_b64 exec, exec, s[0:1]
	v_mul_f32_e32 v54, v0, v0
	v_mov_b32_e32 v52, 0xbf039337
	v_fmac_f32_e32 v52, 0x3c971480, v54
	v_fma_f32 v52, v54, v52, v43
	v_rcp_f32_e32 v55, v52
	v_add_u32_e32 v11, s45, v39
	v_ashrrev_i32_e32 v17, 31, v11
	v_add_co_u32_e32 v52, vcc, s16, v11
	v_mov_b32_e32 v11, 0x3ec54587
	v_fmac_f32_e32 v11, 0xbc8cedd3, v54
	v_mul_f32_e32 v11, v11, v55
	v_mov_b32_e32 v51, s17
	v_mul_f32_e32 v11, v54, v11
	v_addc_co_u32_e32 v53, vcc, v51, v17, vcc
	v_fma_f32 v17, v11, v0, v0
	v_rcp_f32_e32 v51, v17
	v_sub_f32_e32 v54, v17, v0
	v_fma_f32 v0, v11, v0, -v54
	v_and_b32_e32 v10, 1, v10
	v_fma_f32 v11, v17, -v51, 1.0
	v_fma_f32 v0, v0, -v51, v11
	v_fma_f32 v0, v0, -v51, -v51
	v_cmp_eq_u32_e32 vcc, 0, v10
	v_cndmask_b32_e32 v0, v0, v17, vcc
	v_xor_b32_e32 v6, v6, v5
	v_xor_b32_e32 v0, v6, v0
	v_cmp_class_f32_e64 vcc, v5, s44
	v_cndmask_b32_e32 v0, v48, v0, vcc
	v_mov_b32_e32 v5, s13
	v_fma_mixlo_f16 v0, s14, v0, v5
	global_store_short v[52:53], v0, off
.LBB10_25:                              ;   in Loop: Header=BB10_9 Depth=1
	s_or_b64 exec, exec, s[18:19]
	v_mov_b32_e32 v0, s15
	v_add_co_u32_e32 v10, vcc, s22, v14
	v_addc_co_u32_e32 v11, vcc, v0, v15, vcc
	v_cmp_gt_i64_e32 vcc, s[8:9], v[10:11]
	s_and_saveexec_b64 s[18:19], vcc
	s_cbranch_execz .LBB10_31
; %bb.26:                               ;   in Loop: Header=BB10_9 Depth=1
	v_cvt_f32_u32_e32 v0, v7
	v_mov_b32_e32 v5, 0x2f800000
                                        ; implicit-def: $vgpr7
	v_fmac_f32_e32 v5, 0x2f800000, v0
	v_cmp_nlt_f32_e32 vcc, s12, v5
	v_cndmask_b32_e32 v0, v44, v5, vcc
	v_cmp_ngt_f32_e32 vcc, s31, v0
	v_cndmask_b32_e32 v0, v45, v0, vcc
	v_add_f32_e32 v0, -0.5, v0
	v_mul_f32_e32 v5, 0x40490fdb, v0
	v_and_b32_e32 v6, 0x7fffffff, v5
	v_cmp_nlt_f32_e64 s[0:1], |v5|, s33
                                        ; implicit-def: $vgpr0
	s_and_saveexec_b64 s[2:3], s[0:1]
	s_xor_b64 s[20:21], exec, s[2:3]
	s_cbranch_execz .LBB10_28
; %bb.27:                               ;   in Loop: Header=BB10_9 Depth=1
	v_lshrrev_b32_e32 v0, 23, v6
	v_add_u32_e32 v0, 0xffffff88, v0
	v_cmp_lt_u32_e32 vcc, 63, v0
	v_cndmask_b32_e32 v7, 0, v46, vcc
	v_add_u32_e32 v0, v7, v0
	v_cmp_lt_u32_e64 s[0:1], 31, v0
	v_cndmask_b32_e64 v7, 0, v47, s[0:1]
	v_add_u32_e32 v0, v7, v0
	v_cmp_lt_u32_e64 s[2:3], 31, v0
	v_cndmask_b32_e64 v7, 0, v47, s[2:3]
	v_add_u32_e32 v7, v7, v0
	v_and_b32_e32 v0, 0x7fffff, v6
	v_or_b32_e32 v17, 0x800000, v0
	v_mad_u64_u32 v[10:11], s[4:5], v17, s34, 0
	v_mov_b32_e32 v0, v11
	v_mad_u64_u32 v[52:53], s[4:5], v17, s35, v[0:1]
	v_mov_b32_e32 v0, v53
	v_mad_u64_u32 v[54:55], s[4:5], v17, s36, v[0:1]
	v_mov_b32_e32 v0, v55
	v_mad_u64_u32 v[56:57], s[4:5], v17, s37, v[0:1]
	v_mov_b32_e32 v0, v57
	v_mad_u64_u32 v[58:59], s[4:5], v17, s38, v[0:1]
	v_mov_b32_e32 v0, v59
	v_mad_u64_u32 v[60:61], s[4:5], v17, s39, v[0:1]
	v_mov_b32_e32 v0, v61
	v_mad_u64_u32 v[62:63], s[4:5], v17, s40, v[0:1]
	v_cndmask_b32_e32 v11, v60, v56, vcc
	v_cndmask_b32_e32 v0, v62, v58, vcc
	;; [unrolled: 1-line block ×3, first 2 shown]
	v_cndmask_b32_e64 v17, v0, v11, s[0:1]
	v_cndmask_b32_e64 v0, v51, v0, s[0:1]
	v_cndmask_b32_e32 v51, v58, v54, vcc
	v_cndmask_b32_e64 v11, v11, v51, s[0:1]
	v_cndmask_b32_e64 v0, v0, v17, s[2:3]
	v_cndmask_b32_e64 v17, v17, v11, s[2:3]
	v_sub_u32_e32 v53, 32, v7
	v_alignbit_b32 v55, v0, v17, v53
	v_cmp_eq_u32_e64 s[4:5], 0, v7
	v_cndmask_b32_e64 v7, v55, v0, s[4:5]
	v_cndmask_b32_e32 v0, v56, v52, vcc
	v_cndmask_b32_e64 v51, v51, v0, s[0:1]
	v_cndmask_b32_e64 v11, v11, v51, s[2:3]
	v_cndmask_b32_e32 v10, v54, v10, vcc
	v_alignbit_b32 v52, v17, v11, v53
	v_cndmask_b32_e64 v0, v0, v10, s[0:1]
	v_cndmask_b32_e64 v17, v52, v17, s[4:5]
	v_bfe_u32 v56, v7, 29, 1
	v_cndmask_b32_e64 v0, v51, v0, s[2:3]
	v_alignbit_b32 v52, v7, v17, 30
	v_sub_u32_e32 v57, 0, v56
	v_alignbit_b32 v10, v11, v0, v53
	v_xor_b32_e32 v58, v52, v57
	v_cndmask_b32_e64 v10, v10, v11, s[4:5]
	v_alignbit_b32 v11, v17, v10, 30
	v_ffbh_u32_e32 v17, v58
	v_add_u32_e32 v17, 1, v17
	v_cmp_ne_u32_e32 vcc, v52, v57
	v_cndmask_b32_e32 v17, 33, v17, vcc
	v_alignbit_b32 v0, v10, v0, 30
	v_xor_b32_e32 v11, v11, v57
	v_sub_u32_e32 v51, 32, v17
	v_xor_b32_e32 v0, v0, v57
	v_alignbit_b32 v52, v58, v11, v51
	v_alignbit_b32 v0, v11, v0, v51
	v_alignbit_b32 v10, v52, v0, 9
	v_ffbh_u32_e32 v11, v10
	v_min_u32_e32 v11, 32, v11
	v_lshrrev_b32_e32 v55, 29, v7
	v_sub_u32_e32 v51, 31, v11
	v_alignbit_b32 v0, v10, v0, v51
	v_lshlrev_b32_e32 v10, 31, v55
	v_or_b32_e32 v51, 0x33800000, v10
	v_add_lshl_u32 v11, v11, v17, 23
	v_lshrrev_b32_e32 v0, 9, v0
	v_sub_u32_e32 v11, v51, v11
	v_or_b32_e32 v0, v11, v0
	v_alignbit_b32 v11, v17, v52, 9
	v_or_b32_e32 v10, v11, v10
	v_xor_b32_e32 v10, 1.0, v10
	v_mul_f32_e32 v11, 0x3fc90fda, v10
	v_fma_f32 v17, v10, s41, -v11
	v_fmac_f32_e32 v17, 0x33a22168, v10
	v_fmac_f32_e32 v17, 0x3fc90fda, v0
	v_lshrrev_b32_e32 v7, 30, v7
	v_add_f32_e32 v0, v11, v17
	v_add_u32_e32 v7, v56, v7
.LBB10_28:                              ;   in Loop: Header=BB10_9 Depth=1
	s_andn2_saveexec_b64 s[0:1], s[20:21]
; %bb.29:                               ;   in Loop: Header=BB10_9 Depth=1
	v_mul_f32_e64 v0, |v5|, s42
	v_rndne_f32_e32 v10, v0
	v_cvt_i32_f32_e32 v7, v10
	v_fma_f32 v0, v10, s43, |v5|
	v_fmac_f32_e32 v0, 0xb3a22168, v10
	v_fmac_f32_e32 v0, 0xa7c234c4, v10
; %bb.30:                               ;   in Loop: Header=BB10_9 Depth=1
	s_or_b64 exec, exec, s[0:1]
	v_mul_f32_e32 v51, v0, v0
	v_mov_b32_e32 v52, 0xbf039337
	v_fmac_f32_e32 v52, 0x3c971480, v51
	v_fma_f32 v52, v51, v52, v43
	v_add_u32_e32 v10, s45, v42
	v_rcp_f32_e32 v52, v52
	v_ashrrev_i32_e32 v11, 31, v10
	v_mov_b32_e32 v17, s17
	v_add_co_u32_e32 v10, vcc, s16, v10
	v_addc_co_u32_e32 v11, vcc, v17, v11, vcc
	v_mov_b32_e32 v17, 0x3ec54587
	v_fmac_f32_e32 v17, 0xbc8cedd3, v51
	v_mul_f32_e32 v17, v17, v52
	v_mul_f32_e32 v17, v51, v17
	v_fma_f32 v51, v17, v0, v0
	v_rcp_f32_e32 v52, v51
	v_sub_f32_e32 v53, v51, v0
	v_fma_f32 v0, v17, v0, -v53
	v_and_b32_e32 v7, 1, v7
	v_fma_f32 v17, v51, -v52, 1.0
	v_fma_f32 v0, v0, -v52, v17
	v_fma_f32 v0, v0, -v52, -v52
	v_cmp_eq_u32_e32 vcc, 0, v7
	v_cndmask_b32_e32 v0, v0, v51, vcc
	v_xor_b32_e32 v6, v6, v5
	v_xor_b32_e32 v0, v6, v0
	v_cmp_class_f32_e64 vcc, v5, s44
	v_cndmask_b32_e32 v0, v48, v0, vcc
	v_mov_b32_e32 v5, s13
	v_fma_mixlo_f16 v0, s14, v0, v5
	global_store_short v[10:11], v0, off
.LBB10_31:                              ;   in Loop: Header=BB10_9 Depth=1
	s_or_b64 exec, exec, s[18:19]
	v_mov_b32_e32 v0, s27
	v_add_co_u32_e32 v6, vcc, s26, v14
	v_addc_co_u32_e32 v7, vcc, v0, v15, vcc
	v_cmp_gt_i64_e32 vcc, s[8:9], v[6:7]
	s_and_saveexec_b64 s[18:19], vcc
	s_cbranch_execz .LBB10_37
; %bb.32:                               ;   in Loop: Header=BB10_9 Depth=1
	v_cvt_f32_u32_e32 v0, v8
	v_mov_b32_e32 v5, 0x2f800000
                                        ; implicit-def: $vgpr7
	v_fmac_f32_e32 v5, 0x2f800000, v0
	v_cmp_nlt_f32_e32 vcc, s12, v5
	v_cndmask_b32_e32 v0, v44, v5, vcc
	v_cmp_ngt_f32_e32 vcc, s31, v0
	v_cndmask_b32_e32 v0, v45, v0, vcc
	v_add_f32_e32 v0, -0.5, v0
	v_mul_f32_e32 v5, 0x40490fdb, v0
	v_and_b32_e32 v6, 0x7fffffff, v5
	v_cmp_nlt_f32_e64 s[0:1], |v5|, s33
                                        ; implicit-def: $vgpr0
	s_and_saveexec_b64 s[2:3], s[0:1]
	s_xor_b64 s[20:21], exec, s[2:3]
	s_cbranch_execz .LBB10_34
; %bb.33:                               ;   in Loop: Header=BB10_9 Depth=1
	v_lshrrev_b32_e32 v0, 23, v6
	v_add_u32_e32 v0, 0xffffff88, v0
	v_cmp_lt_u32_e32 vcc, 63, v0
	v_cndmask_b32_e32 v7, 0, v46, vcc
	v_add_u32_e32 v0, v7, v0
	v_cmp_lt_u32_e64 s[0:1], 31, v0
	v_cndmask_b32_e64 v7, 0, v47, s[0:1]
	v_add_u32_e32 v0, v7, v0
	v_cmp_lt_u32_e64 s[2:3], 31, v0
	v_cndmask_b32_e64 v7, 0, v47, s[2:3]
	v_add_u32_e32 v7, v7, v0
	v_and_b32_e32 v0, 0x7fffff, v6
	v_or_b32_e32 v8, 0x800000, v0
	v_mad_u64_u32 v[10:11], s[4:5], v8, s34, 0
	v_mov_b32_e32 v0, v11
	v_mad_u64_u32 v[52:53], s[4:5], v8, s35, v[0:1]
	v_mov_b32_e32 v0, v53
	;; [unrolled: 2-line block ×6, first 2 shown]
	v_mad_u64_u32 v[62:63], s[4:5], v8, s40, v[0:1]
	v_cndmask_b32_e32 v11, v60, v56, vcc
	v_cndmask_b32_e32 v0, v62, v58, vcc
	v_cndmask_b32_e32 v17, v63, v60, vcc
	v_cndmask_b32_e64 v8, v0, v11, s[0:1]
	v_cndmask_b32_e64 v0, v17, v0, s[0:1]
	v_cndmask_b32_e32 v17, v58, v54, vcc
	v_cndmask_b32_e64 v11, v11, v17, s[0:1]
	v_cndmask_b32_e64 v0, v0, v8, s[2:3]
	;; [unrolled: 1-line block ×3, first 2 shown]
	v_sub_u32_e32 v51, 32, v7
	v_alignbit_b32 v53, v0, v8, v51
	v_cmp_eq_u32_e64 s[4:5], 0, v7
	v_cndmask_b32_e64 v7, v53, v0, s[4:5]
	v_cndmask_b32_e32 v0, v56, v52, vcc
	v_cndmask_b32_e64 v17, v17, v0, s[0:1]
	v_cndmask_b32_e64 v11, v11, v17, s[2:3]
	v_alignbit_b32 v52, v8, v11, v51
	v_cndmask_b32_e32 v10, v54, v10, vcc
	v_cndmask_b32_e64 v8, v52, v8, s[4:5]
	v_bfe_u32 v55, v7, 29, 1
	v_cndmask_b32_e64 v0, v0, v10, s[0:1]
	v_alignbit_b32 v52, v7, v8, 30
	v_sub_u32_e32 v56, 0, v55
	v_cndmask_b32_e64 v0, v17, v0, s[2:3]
	v_xor_b32_e32 v57, v52, v56
	v_alignbit_b32 v10, v11, v0, v51
	v_cndmask_b32_e64 v10, v10, v11, s[4:5]
	v_ffbh_u32_e32 v11, v57
	v_add_u32_e32 v11, 1, v11
	v_cmp_ne_u32_e32 vcc, v52, v56
	v_alignbit_b32 v8, v8, v10, 30
	v_cndmask_b32_e32 v11, 33, v11, vcc
	v_alignbit_b32 v0, v10, v0, 30
	v_xor_b32_e32 v8, v8, v56
	v_sub_u32_e32 v17, 32, v11
	v_xor_b32_e32 v0, v0, v56
	v_alignbit_b32 v51, v57, v8, v17
	v_alignbit_b32 v0, v8, v0, v17
	v_alignbit_b32 v8, v51, v0, 9
	v_ffbh_u32_e32 v10, v8
	v_min_u32_e32 v10, 32, v10
	v_lshrrev_b32_e32 v53, 29, v7
	v_sub_u32_e32 v17, 31, v10
	v_alignbit_b32 v0, v8, v0, v17
	v_lshlrev_b32_e32 v8, 31, v53
	v_or_b32_e32 v17, 0x33800000, v8
	v_add_lshl_u32 v10, v10, v11, 23
	v_lshrrev_b32_e32 v0, 9, v0
	v_sub_u32_e32 v10, v17, v10
	v_or_b32_e32 v0, v10, v0
	v_alignbit_b32 v10, v11, v51, 9
	v_or_b32_e32 v8, v10, v8
	v_xor_b32_e32 v8, 1.0, v8
	v_mul_f32_e32 v10, 0x3fc90fda, v8
	v_fma_f32 v11, v8, s41, -v10
	v_fmac_f32_e32 v11, 0x33a22168, v8
	v_fmac_f32_e32 v11, 0x3fc90fda, v0
	v_lshrrev_b32_e32 v7, 30, v7
	v_add_f32_e32 v0, v10, v11
	v_add_u32_e32 v7, v55, v7
.LBB10_34:                              ;   in Loop: Header=BB10_9 Depth=1
	s_andn2_saveexec_b64 s[0:1], s[20:21]
; %bb.35:                               ;   in Loop: Header=BB10_9 Depth=1
	v_mul_f32_e64 v0, |v5|, s42
	v_rndne_f32_e32 v8, v0
	v_cvt_i32_f32_e32 v7, v8
	v_fma_f32 v0, v8, s43, |v5|
	v_fmac_f32_e32 v0, 0xb3a22168, v8
	v_fmac_f32_e32 v0, 0xa7c234c4, v8
; %bb.36:                               ;   in Loop: Header=BB10_9 Depth=1
	s_or_b64 exec, exec, s[0:1]
	v_mul_f32_e32 v51, v0, v0
	v_mov_b32_e32 v10, 0xbf039337
	v_fmac_f32_e32 v10, 0x3c971480, v51
	v_fma_f32 v10, v51, v10, v43
	v_rcp_f32_e32 v52, v10
	v_add_u32_e32 v8, s45, v41
	v_ashrrev_i32_e32 v11, 31, v8
	v_add_co_u32_e32 v10, vcc, s16, v8
	v_mov_b32_e32 v8, 0x3ec54587
	v_fmac_f32_e32 v8, 0xbc8cedd3, v51
	v_mul_f32_e32 v8, v8, v52
	v_mov_b32_e32 v17, s17
	v_mul_f32_e32 v8, v51, v8
	v_addc_co_u32_e32 v11, vcc, v17, v11, vcc
	v_fma_f32 v17, v8, v0, v0
	v_rcp_f32_e32 v51, v17
	v_sub_f32_e32 v52, v17, v0
	v_fma_f32 v0, v8, v0, -v52
	v_and_b32_e32 v7, 1, v7
	v_fma_f32 v8, v17, -v51, 1.0
	v_fma_f32 v0, v0, -v51, v8
	v_fma_f32 v0, v0, -v51, -v51
	v_cmp_eq_u32_e32 vcc, 0, v7
	v_cndmask_b32_e32 v0, v0, v17, vcc
	v_xor_b32_e32 v6, v6, v5
	v_xor_b32_e32 v0, v6, v0
	v_cmp_class_f32_e64 vcc, v5, s44
	v_cndmask_b32_e32 v0, v48, v0, vcc
	v_mov_b32_e32 v5, s13
	v_fma_mixlo_f16 v0, s14, v0, v5
	global_store_short v[10:11], v0, off
.LBB10_37:                              ;   in Loop: Header=BB10_9 Depth=1
	s_or_b64 exec, exec, s[18:19]
	v_mov_b32_e32 v0, s29
	v_add_co_u32_e32 v6, vcc, s28, v14
	v_addc_co_u32_e32 v7, vcc, v0, v15, vcc
	v_cmp_gt_i64_e32 vcc, s[8:9], v[6:7]
	s_and_saveexec_b64 s[18:19], vcc
	s_cbranch_execz .LBB10_8
; %bb.38:                               ;   in Loop: Header=BB10_9 Depth=1
	v_cvt_f32_u32_e32 v0, v9
	v_mov_b32_e32 v5, 0x2f800000
                                        ; implicit-def: $vgpr7
	v_fmac_f32_e32 v5, 0x2f800000, v0
	v_cmp_nlt_f32_e32 vcc, s12, v5
	v_cndmask_b32_e32 v0, v44, v5, vcc
	v_cmp_ngt_f32_e32 vcc, s31, v0
	v_cndmask_b32_e32 v0, v45, v0, vcc
	v_add_f32_e32 v0, -0.5, v0
	v_mul_f32_e32 v5, 0x40490fdb, v0
	v_and_b32_e32 v6, 0x7fffffff, v5
	v_cmp_nlt_f32_e64 s[0:1], |v5|, s33
                                        ; implicit-def: $vgpr0
	s_and_saveexec_b64 s[2:3], s[0:1]
	s_xor_b64 s[20:21], exec, s[2:3]
	s_cbranch_execz .LBB10_40
; %bb.39:                               ;   in Loop: Header=BB10_9 Depth=1
	v_lshrrev_b32_e32 v0, 23, v6
	v_add_u32_e32 v0, 0xffffff88, v0
	v_cmp_lt_u32_e32 vcc, 63, v0
	v_cndmask_b32_e32 v7, 0, v46, vcc
	v_add_u32_e32 v0, v7, v0
	v_cmp_lt_u32_e64 s[0:1], 31, v0
	v_cndmask_b32_e64 v7, 0, v47, s[0:1]
	v_add_u32_e32 v0, v7, v0
	v_cmp_lt_u32_e64 s[2:3], 31, v0
	v_cndmask_b32_e64 v7, 0, v47, s[2:3]
	v_add_u32_e32 v7, v7, v0
	v_and_b32_e32 v0, 0x7fffff, v6
	v_or_b32_e32 v17, 0x800000, v0
	v_mad_u64_u32 v[8:9], s[4:5], v17, s34, 0
	v_mov_b32_e32 v0, v9
	v_mad_u64_u32 v[10:11], s[4:5], v17, s35, v[0:1]
	v_mov_b32_e32 v0, v11
	;; [unrolled: 2-line block ×6, first 2 shown]
	v_mad_u64_u32 v[60:61], s[4:5], v17, s40, v[0:1]
	v_cndmask_b32_e32 v9, v58, v54, vcc
	v_cndmask_b32_e32 v0, v60, v56, vcc
	;; [unrolled: 1-line block ×3, first 2 shown]
	v_cndmask_b32_e64 v11, v0, v9, s[0:1]
	v_cndmask_b32_e64 v0, v17, v0, s[0:1]
	v_cndmask_b32_e32 v17, v56, v52, vcc
	v_cndmask_b32_e64 v9, v9, v17, s[0:1]
	v_cndmask_b32_e64 v0, v0, v11, s[2:3]
	;; [unrolled: 1-line block ×3, first 2 shown]
	v_sub_u32_e32 v51, 32, v7
	v_alignbit_b32 v53, v0, v11, v51
	v_cmp_eq_u32_e64 s[4:5], 0, v7
	v_cndmask_b32_e64 v7, v53, v0, s[4:5]
	v_cndmask_b32_e32 v0, v54, v10, vcc
	v_cndmask_b32_e64 v10, v17, v0, s[0:1]
	v_cndmask_b32_e64 v9, v9, v10, s[2:3]
	v_alignbit_b32 v17, v11, v9, v51
	v_cndmask_b32_e64 v11, v17, v11, s[4:5]
	v_bfe_u32 v54, v7, 29, 1
	v_cndmask_b32_e32 v8, v52, v8, vcc
	v_alignbit_b32 v17, v7, v11, 30
	v_sub_u32_e32 v55, 0, v54
	v_cndmask_b32_e64 v0, v0, v8, s[0:1]
	v_xor_b32_e32 v56, v17, v55
	v_cndmask_b32_e64 v0, v10, v0, s[2:3]
	v_alignbit_b32 v8, v9, v0, v51
	v_ffbh_u32_e32 v10, v56
	v_cndmask_b32_e64 v8, v8, v9, s[4:5]
	v_add_u32_e32 v10, 1, v10
	v_cmp_ne_u32_e32 vcc, v17, v55
	v_alignbit_b32 v9, v11, v8, 30
	v_cndmask_b32_e32 v10, 33, v10, vcc
	v_alignbit_b32 v0, v8, v0, 30
	v_xor_b32_e32 v9, v9, v55
	v_sub_u32_e32 v11, 32, v10
	v_xor_b32_e32 v0, v0, v55
	v_alignbit_b32 v17, v56, v9, v11
	v_alignbit_b32 v0, v9, v0, v11
	;; [unrolled: 1-line block ×3, first 2 shown]
	v_ffbh_u32_e32 v9, v8
	v_min_u32_e32 v9, 32, v9
	v_lshrrev_b32_e32 v53, 29, v7
	v_sub_u32_e32 v11, 31, v9
	v_alignbit_b32 v0, v8, v0, v11
	v_lshlrev_b32_e32 v8, 31, v53
	v_or_b32_e32 v11, 0x33800000, v8
	v_add_lshl_u32 v9, v9, v10, 23
	v_lshrrev_b32_e32 v0, 9, v0
	v_sub_u32_e32 v9, v11, v9
	v_or_b32_e32 v0, v9, v0
	v_alignbit_b32 v9, v10, v17, 9
	v_or_b32_e32 v8, v9, v8
	v_xor_b32_e32 v8, 1.0, v8
	v_mul_f32_e32 v9, 0x3fc90fda, v8
	v_fma_f32 v10, v8, s41, -v9
	v_fmac_f32_e32 v10, 0x33a22168, v8
	v_fmac_f32_e32 v10, 0x3fc90fda, v0
	v_lshrrev_b32_e32 v7, 30, v7
	v_add_f32_e32 v0, v9, v10
	v_add_u32_e32 v7, v54, v7
.LBB10_40:                              ;   in Loop: Header=BB10_9 Depth=1
	s_andn2_saveexec_b64 s[0:1], s[20:21]
	s_cbranch_execz .LBB10_7
; %bb.41:                               ;   in Loop: Header=BB10_9 Depth=1
	v_mul_f32_e64 v0, |v5|, s42
	v_rndne_f32_e32 v8, v0
	v_cvt_i32_f32_e32 v7, v8
	v_fma_f32 v0, v8, s43, |v5|
	v_fmac_f32_e32 v0, 0xb3a22168, v8
	v_fmac_f32_e32 v0, 0xa7c234c4, v8
	s_branch .LBB10_7
.LBB10_42:
	s_endpgm
.LBB10_43:
                                        ; implicit-def: $sgpr2_sgpr3
	s_andn2_b64 vcc, exec, s[0:1]
	s_cbranch_vccz .LBB10_4
	s_branch .LBB10_5
	.section	.rodata,"a",@progbits
	.p2align	6, 0x0
	.amdhsa_kernel _ZN2at6native12_GLOBAL__N_143distribution_elementwise_grid_stride_kernelIfLi4EZNS0_9templates4cuda21uniform_and_transformIN3c104HalfEfPNS_17CUDAGeneratorImplEZZZNS4_13cauchy_kernelIS9_EEvRNS_18TensorIteratorBaseEddT_ENKUlvE_clEvENKUlvE1_clEvEUlfE_EEvSC_T1_T2_EUlP25hiprandStatePhilox4_32_10E0_ZNS1_27distribution_nullary_kernelIS7_f15HIP_vector_typeIfLj4EES9_SL_SG_EEvSC_SI_RKT3_T4_EUlifE_EEvlNS_15PhiloxCudaStateESH_SI_
		.amdhsa_group_segment_fixed_size 0
		.amdhsa_private_segment_fixed_size 0
		.amdhsa_kernarg_size 328
		.amdhsa_user_sgpr_count 6
		.amdhsa_user_sgpr_private_segment_buffer 1
		.amdhsa_user_sgpr_dispatch_ptr 0
		.amdhsa_user_sgpr_queue_ptr 0
		.amdhsa_user_sgpr_kernarg_segment_ptr 1
		.amdhsa_user_sgpr_dispatch_id 0
		.amdhsa_user_sgpr_flat_scratch_init 0
		.amdhsa_user_sgpr_kernarg_preload_length 0
		.amdhsa_user_sgpr_kernarg_preload_offset 0
		.amdhsa_user_sgpr_private_segment_size 0
		.amdhsa_uses_dynamic_stack 0
		.amdhsa_system_sgpr_private_segment_wavefront_offset 0
		.amdhsa_system_sgpr_workgroup_id_x 1
		.amdhsa_system_sgpr_workgroup_id_y 0
		.amdhsa_system_sgpr_workgroup_id_z 0
		.amdhsa_system_sgpr_workgroup_info 0
		.amdhsa_system_vgpr_workitem_id 0
		.amdhsa_next_free_vgpr 64
		.amdhsa_next_free_sgpr 46
		.amdhsa_accum_offset 64
		.amdhsa_reserve_vcc 1
		.amdhsa_reserve_flat_scratch 0
		.amdhsa_float_round_mode_32 0
		.amdhsa_float_round_mode_16_64 0
		.amdhsa_float_denorm_mode_32 3
		.amdhsa_float_denorm_mode_16_64 3
		.amdhsa_dx10_clamp 1
		.amdhsa_ieee_mode 1
		.amdhsa_fp16_overflow 0
		.amdhsa_tg_split 0
		.amdhsa_exception_fp_ieee_invalid_op 0
		.amdhsa_exception_fp_denorm_src 0
		.amdhsa_exception_fp_ieee_div_zero 0
		.amdhsa_exception_fp_ieee_overflow 0
		.amdhsa_exception_fp_ieee_underflow 0
		.amdhsa_exception_fp_ieee_inexact 0
		.amdhsa_exception_int_div_zero 0
	.end_amdhsa_kernel
	.section	.text._ZN2at6native12_GLOBAL__N_143distribution_elementwise_grid_stride_kernelIfLi4EZNS0_9templates4cuda21uniform_and_transformIN3c104HalfEfPNS_17CUDAGeneratorImplEZZZNS4_13cauchy_kernelIS9_EEvRNS_18TensorIteratorBaseEddT_ENKUlvE_clEvENKUlvE1_clEvEUlfE_EEvSC_T1_T2_EUlP25hiprandStatePhilox4_32_10E0_ZNS1_27distribution_nullary_kernelIS7_f15HIP_vector_typeIfLj4EES9_SL_SG_EEvSC_SI_RKT3_T4_EUlifE_EEvlNS_15PhiloxCudaStateESH_SI_,"axG",@progbits,_ZN2at6native12_GLOBAL__N_143distribution_elementwise_grid_stride_kernelIfLi4EZNS0_9templates4cuda21uniform_and_transformIN3c104HalfEfPNS_17CUDAGeneratorImplEZZZNS4_13cauchy_kernelIS9_EEvRNS_18TensorIteratorBaseEddT_ENKUlvE_clEvENKUlvE1_clEvEUlfE_EEvSC_T1_T2_EUlP25hiprandStatePhilox4_32_10E0_ZNS1_27distribution_nullary_kernelIS7_f15HIP_vector_typeIfLj4EES9_SL_SG_EEvSC_SI_RKT3_T4_EUlifE_EEvlNS_15PhiloxCudaStateESH_SI_,comdat
.Lfunc_end10:
	.size	_ZN2at6native12_GLOBAL__N_143distribution_elementwise_grid_stride_kernelIfLi4EZNS0_9templates4cuda21uniform_and_transformIN3c104HalfEfPNS_17CUDAGeneratorImplEZZZNS4_13cauchy_kernelIS9_EEvRNS_18TensorIteratorBaseEddT_ENKUlvE_clEvENKUlvE1_clEvEUlfE_EEvSC_T1_T2_EUlP25hiprandStatePhilox4_32_10E0_ZNS1_27distribution_nullary_kernelIS7_f15HIP_vector_typeIfLj4EES9_SL_SG_EEvSC_SI_RKT3_T4_EUlifE_EEvlNS_15PhiloxCudaStateESH_SI_, .Lfunc_end10-_ZN2at6native12_GLOBAL__N_143distribution_elementwise_grid_stride_kernelIfLi4EZNS0_9templates4cuda21uniform_and_transformIN3c104HalfEfPNS_17CUDAGeneratorImplEZZZNS4_13cauchy_kernelIS9_EEvRNS_18TensorIteratorBaseEddT_ENKUlvE_clEvENKUlvE1_clEvEUlfE_EEvSC_T1_T2_EUlP25hiprandStatePhilox4_32_10E0_ZNS1_27distribution_nullary_kernelIS7_f15HIP_vector_typeIfLj4EES9_SL_SG_EEvSC_SI_RKT3_T4_EUlifE_EEvlNS_15PhiloxCudaStateESH_SI_
                                        ; -- End function
	.section	.AMDGPU.csdata,"",@progbits
; Kernel info:
; codeLenInByte = 5660
; NumSgprs: 50
; NumVgprs: 64
; NumAgprs: 0
; TotalNumVgprs: 64
; ScratchSize: 0
; MemoryBound: 0
; FloatMode: 240
; IeeeMode: 1
; LDSByteSize: 0 bytes/workgroup (compile time only)
; SGPRBlocks: 6
; VGPRBlocks: 7
; NumSGPRsForWavesPerEU: 50
; NumVGPRsForWavesPerEU: 64
; AccumOffset: 64
; Occupancy: 8
; WaveLimiterHint : 0
; COMPUTE_PGM_RSRC2:SCRATCH_EN: 0
; COMPUTE_PGM_RSRC2:USER_SGPR: 6
; COMPUTE_PGM_RSRC2:TRAP_HANDLER: 0
; COMPUTE_PGM_RSRC2:TGID_X_EN: 1
; COMPUTE_PGM_RSRC2:TGID_Y_EN: 0
; COMPUTE_PGM_RSRC2:TGID_Z_EN: 0
; COMPUTE_PGM_RSRC2:TIDIG_COMP_CNT: 0
; COMPUTE_PGM_RSRC3_GFX90A:ACCUM_OFFSET: 15
; COMPUTE_PGM_RSRC3_GFX90A:TG_SPLIT: 0
	.section	.text._ZN2at6native12_GLOBAL__N_143distribution_elementwise_grid_stride_kernelIfLi4EZNS0_9templates4cuda21uniform_and_transformIN3c104HalfEfPNS_17CUDAGeneratorImplEZZZNS4_13cauchy_kernelIS9_EEvRNS_18TensorIteratorBaseEddT_ENKUlvE_clEvENKUlvE1_clEvEUlfE_EEvSC_T1_T2_EUlP25hiprandStatePhilox4_32_10E0_ZNS1_27distribution_nullary_kernelIS7_f15HIP_vector_typeIfLj4EES9_SL_SG_EEvSC_SI_RKT3_T4_EUlifE0_EEvlNS_15PhiloxCudaStateESH_SI_,"axG",@progbits,_ZN2at6native12_GLOBAL__N_143distribution_elementwise_grid_stride_kernelIfLi4EZNS0_9templates4cuda21uniform_and_transformIN3c104HalfEfPNS_17CUDAGeneratorImplEZZZNS4_13cauchy_kernelIS9_EEvRNS_18TensorIteratorBaseEddT_ENKUlvE_clEvENKUlvE1_clEvEUlfE_EEvSC_T1_T2_EUlP25hiprandStatePhilox4_32_10E0_ZNS1_27distribution_nullary_kernelIS7_f15HIP_vector_typeIfLj4EES9_SL_SG_EEvSC_SI_RKT3_T4_EUlifE0_EEvlNS_15PhiloxCudaStateESH_SI_,comdat
	.globl	_ZN2at6native12_GLOBAL__N_143distribution_elementwise_grid_stride_kernelIfLi4EZNS0_9templates4cuda21uniform_and_transformIN3c104HalfEfPNS_17CUDAGeneratorImplEZZZNS4_13cauchy_kernelIS9_EEvRNS_18TensorIteratorBaseEddT_ENKUlvE_clEvENKUlvE1_clEvEUlfE_EEvSC_T1_T2_EUlP25hiprandStatePhilox4_32_10E0_ZNS1_27distribution_nullary_kernelIS7_f15HIP_vector_typeIfLj4EES9_SL_SG_EEvSC_SI_RKT3_T4_EUlifE0_EEvlNS_15PhiloxCudaStateESH_SI_ ; -- Begin function _ZN2at6native12_GLOBAL__N_143distribution_elementwise_grid_stride_kernelIfLi4EZNS0_9templates4cuda21uniform_and_transformIN3c104HalfEfPNS_17CUDAGeneratorImplEZZZNS4_13cauchy_kernelIS9_EEvRNS_18TensorIteratorBaseEddT_ENKUlvE_clEvENKUlvE1_clEvEUlfE_EEvSC_T1_T2_EUlP25hiprandStatePhilox4_32_10E0_ZNS1_27distribution_nullary_kernelIS7_f15HIP_vector_typeIfLj4EES9_SL_SG_EEvSC_SI_RKT3_T4_EUlifE0_EEvlNS_15PhiloxCudaStateESH_SI_
	.p2align	8
	.type	_ZN2at6native12_GLOBAL__N_143distribution_elementwise_grid_stride_kernelIfLi4EZNS0_9templates4cuda21uniform_and_transformIN3c104HalfEfPNS_17CUDAGeneratorImplEZZZNS4_13cauchy_kernelIS9_EEvRNS_18TensorIteratorBaseEddT_ENKUlvE_clEvENKUlvE1_clEvEUlfE_EEvSC_T1_T2_EUlP25hiprandStatePhilox4_32_10E0_ZNS1_27distribution_nullary_kernelIS7_f15HIP_vector_typeIfLj4EES9_SL_SG_EEvSC_SI_RKT3_T4_EUlifE0_EEvlNS_15PhiloxCudaStateESH_SI_,@function
_ZN2at6native12_GLOBAL__N_143distribution_elementwise_grid_stride_kernelIfLi4EZNS0_9templates4cuda21uniform_and_transformIN3c104HalfEfPNS_17CUDAGeneratorImplEZZZNS4_13cauchy_kernelIS9_EEvRNS_18TensorIteratorBaseEddT_ENKUlvE_clEvENKUlvE1_clEvEUlfE_EEvSC_T1_T2_EUlP25hiprandStatePhilox4_32_10E0_ZNS1_27distribution_nullary_kernelIS7_f15HIP_vector_typeIfLj4EES9_SL_SG_EEvSC_SI_RKT3_T4_EUlifE0_EEvlNS_15PhiloxCudaStateESH_SI_: ; @_ZN2at6native12_GLOBAL__N_143distribution_elementwise_grid_stride_kernelIfLi4EZNS0_9templates4cuda21uniform_and_transformIN3c104HalfEfPNS_17CUDAGeneratorImplEZZZNS4_13cauchy_kernelIS9_EEvRNS_18TensorIteratorBaseEddT_ENKUlvE_clEvENKUlvE1_clEvEUlfE_EEvSC_T1_T2_EUlP25hiprandStatePhilox4_32_10E0_ZNS1_27distribution_nullary_kernelIS7_f15HIP_vector_typeIfLj4EES9_SL_SG_EEvSC_SI_RKT3_T4_EUlifE0_EEvlNS_15PhiloxCudaStateESH_SI_
; %bb.0:
	s_load_dword s2, s[4:5], 0x20
	s_load_dwordx2 s[0:1], s[4:5], 0x10
	s_load_dwordx4 s[24:27], s[4:5], 0x0
	s_waitcnt lgkmcnt(0)
	s_bitcmp0_b32 s2, 0
	s_mov_b32 s2, 0
	v_pk_mov_b32 v[2:3], s[0:1], s[0:1] op_sel:[0,1]
	v_pk_mov_b32 v[12:13], s[26:27], s[26:27] op_sel:[0,1]
	s_cbranch_scc1 .LBB11_2
; %bb.1:
	v_pk_mov_b32 v[2:3], s[0:1], s[0:1] op_sel:[0,1]
	flat_load_dwordx2 v[2:3], v[2:3]
	v_pk_mov_b32 v[4:5], s[26:27], s[26:27] op_sel:[0,1]
	flat_load_dwordx2 v[12:13], v[4:5]
	s_load_dwordx2 s[0:1], s[4:5], 0x18
	s_waitcnt lgkmcnt(0)
	v_mov_b32_e32 v1, s1
	s_waitcnt vmcnt(0)
	v_add_co_u32_e32 v2, vcc, s0, v2
	v_addc_co_u32_e32 v3, vcc, v3, v1, vcc
.LBB11_2:
	s_load_dword s0, s[4:5], 0x154
	s_load_dword s7, s[4:5], 0x148
	s_waitcnt lgkmcnt(0)
	s_and_b32 s8, s0, 0xffff
	s_add_u32 s9, s24, -1
	s_mul_i32 s33, s7, s8
	s_addc_u32 s3, s25, -1
	s_lshl_b32 s60, s33, 2
	s_cmp_lg_u64 s[2:3], 0
	s_mov_b64 s[0:1], -1
	s_cbranch_scc0 .LBB11_99
; %bb.3:
	v_cvt_f32_u32_e32 v1, s60
	v_cvt_f32_ubyte0_e32 v4, 0
	s_sub_u32 s2, 0, s60
	s_subb_u32 s10, 0, 0
	v_madmk_f32 v1, v4, 0x4f800000, v1
	v_rcp_f32_e32 v1, v1
	v_mul_f32_e32 v1, 0x5f7ffffc, v1
	v_mul_f32_e32 v4, 0x2f800000, v1
	v_trunc_f32_e32 v4, v4
	v_madmk_f32 v1, v4, 0xcf800000, v1
	v_cvt_u32_f32_e32 v4, v4
	v_cvt_u32_f32_e32 v1, v1
	v_readfirstlane_b32 s11, v4
	v_readfirstlane_b32 s12, v1
	s_mul_i32 s13, s2, s11
	s_mul_hi_u32 s15, s2, s12
	s_mul_i32 s14, s10, s12
	s_add_i32 s13, s15, s13
	s_add_i32 s13, s13, s14
	s_mul_i32 s16, s2, s12
	s_mul_hi_u32 s14, s12, s13
	s_mul_i32 s15, s12, s13
	s_mul_hi_u32 s12, s12, s16
	s_add_u32 s12, s12, s15
	s_addc_u32 s14, 0, s14
	s_mul_hi_u32 s17, s11, s16
	s_mul_i32 s16, s11, s16
	s_add_u32 s12, s12, s16
	s_mul_hi_u32 s15, s11, s13
	s_addc_u32 s12, s14, s17
	s_addc_u32 s14, s15, 0
	s_mul_i32 s13, s11, s13
	s_add_u32 s12, s12, s13
	s_addc_u32 s13, 0, s14
	v_add_co_u32_e32 v1, vcc, s12, v1
	s_cmp_lg_u64 vcc, 0
	s_addc_u32 s11, s11, s13
	v_readfirstlane_b32 s13, v1
	s_mul_i32 s12, s2, s11
	s_mul_hi_u32 s14, s2, s13
	s_add_i32 s12, s14, s12
	s_mul_i32 s10, s10, s13
	s_add_i32 s12, s12, s10
	s_mul_i32 s2, s2, s13
	s_mul_hi_u32 s14, s11, s2
	s_mul_i32 s15, s11, s2
	s_mul_i32 s17, s13, s12
	s_mul_hi_u32 s2, s13, s2
	s_mul_hi_u32 s16, s13, s12
	s_add_u32 s2, s2, s17
	s_addc_u32 s13, 0, s16
	s_add_u32 s2, s2, s15
	s_mul_hi_u32 s10, s11, s12
	s_addc_u32 s2, s13, s14
	s_addc_u32 s10, s10, 0
	s_mul_i32 s12, s11, s12
	s_add_u32 s2, s2, s12
	s_addc_u32 s10, 0, s10
	v_add_co_u32_e32 v1, vcc, s2, v1
	s_cmp_lg_u64 vcc, 0
	s_addc_u32 s12, s11, s10
	s_ashr_i32 s10, s3, 31
	s_add_u32 s2, s9, s10
	s_mov_b32 s11, s10
	s_addc_u32 s3, s3, s10
	s_xor_b64 s[2:3], s[2:3], s[10:11]
	v_readfirstlane_b32 s15, v1
	s_mul_i32 s14, s2, s12
	s_mul_hi_u32 s16, s2, s15
	s_mul_hi_u32 s13, s2, s12
	s_add_u32 s14, s16, s14
	s_addc_u32 s13, 0, s13
	s_mul_hi_u32 s17, s3, s15
	s_mul_i32 s15, s3, s15
	s_add_u32 s14, s14, s15
	s_mul_hi_u32 s16, s3, s12
	s_addc_u32 s13, s13, s17
	s_addc_u32 s14, s16, 0
	s_mul_i32 s12, s3, s12
	s_add_u32 s12, s13, s12
	s_addc_u32 s13, 0, s14
	s_add_u32 s14, s12, 1
	s_addc_u32 s15, s13, 0
	s_add_u32 s16, s12, 2
	s_mul_i32 s18, s60, s13
	s_mul_hi_u32 s19, s60, s12
	s_addc_u32 s17, s13, 0
	s_add_i32 s19, s19, s18
	s_mul_i32 s18, s60, s12
	v_mov_b32_e32 v1, s18
	v_sub_co_u32_e32 v1, vcc, s2, v1
	s_cmp_lg_u64 vcc, 0
	s_subb_u32 s2, s3, s19
	v_subrev_co_u32_e32 v4, vcc, s60, v1
	s_cmp_lg_u64 vcc, 0
	s_subb_u32 s3, s2, 0
	v_readfirstlane_b32 s18, v4
	s_cmp_ge_u32 s18, s60
	s_cselect_b32 s18, -1, 0
	s_cmp_eq_u32 s3, 0
	s_cselect_b32 s3, s18, -1
	s_cmp_lg_u32 s3, 0
	s_cselect_b32 s3, s17, s15
	v_readfirstlane_b32 s15, v1
	s_cselect_b32 s14, s16, s14
	s_cmp_ge_u32 s15, s60
	s_cselect_b32 s15, -1, 0
	s_cmp_eq_u32 s2, 0
	s_cselect_b32 s2, s15, -1
	s_cmp_lg_u32 s2, 0
	s_cselect_b32 s3, s3, s13
	s_cselect_b32 s2, s14, s12
	s_xor_b64 s[2:3], s[2:3], s[10:11]
	s_sub_u32 s2, s2, s10
	s_subb_u32 s3, s3, s10
	s_cbranch_execnz .LBB11_5
.LBB11_4:
	v_cvt_f32_u32_e32 v1, s60
	s_sub_i32 s0, 0, s60
	s_mov_b32 s3, 0
	v_rcp_iflag_f32_e32 v1, v1
	v_mul_f32_e32 v1, 0x4f7ffffe, v1
	v_cvt_u32_f32_e32 v1, v1
	v_readfirstlane_b32 s1, v1
	s_mul_i32 s0, s0, s1
	s_mul_hi_u32 s0, s1, s0
	s_add_i32 s1, s1, s0
	s_mul_hi_u32 s0, s9, s1
	s_mul_i32 s2, s0, s60
	s_sub_i32 s2, s9, s2
	s_add_i32 s1, s0, 1
	s_sub_i32 s9, s2, s60
	s_cmp_ge_u32 s2, s60
	s_cselect_b32 s0, s1, s0
	s_cselect_b32 s2, s9, s2
	s_add_i32 s1, s0, 1
	s_cmp_ge_u32 s2, s60
	s_cselect_b32 s2, s1, s0
.LBB11_5:
	v_mov_b32_e32 v1, 0
	v_mov_b32_e32 v4, s6
	v_mad_u64_u32 v[14:15], s[0:1], s8, v4, v[0:1]
	s_add_u32 s0, s2, 1
	s_addc_u32 s1, s3, 0
	s_mul_hi_u32 s2, s7, s8
	s_mul_i32 s1, s33, s1
	s_mul_hi_u32 s3, s33, s0
	s_add_i32 s1, s3, s1
	s_mul_i32 s2, s2, s0
	s_add_i32 s1, s1, s2
	s_mul_i32 s0, s33, s0
	s_lshl_b64 s[26:27], s[0:1], 2
	v_cmp_gt_i64_e32 vcc, s[26:27], v[14:15]
	s_and_saveexec_b64 s[0:1], vcc
	s_cbranch_execz .LBB11_98
; %bb.6:
	s_mov_b32 s0, 0x5384540f
	v_mov_b32_e32 v0, v13
	v_add_co_u32_e32 v24, vcc, s0, v12
	s_mov_b32 s0, 0x646e171e
	v_add_co_u32_e32 v25, vcc, s0, v0
	s_mov_b32 s0, 0x1715609d
	v_add_co_u32_e32 v26, vcc, s0, v12
	s_mov_b32 s0, 0xed9eba14
	v_add_co_u32_e32 v27, vcc, s0, v0
	s_mov_b32 s0, 0xdaa66d2b
	v_add_co_u32_e32 v28, vcc, s0, v12
	s_mov_b32 s0, 0x76cf5d0a
	v_add_co_u32_e32 v29, vcc, s0, v0
	s_mov_b32 s0, 0x9e3779b9
	v_alignbit_b32 v31, v3, v2, 2
	s_mov_b32 s62, 0xd2511f53
	v_add_co_u32_e32 v30, vcc, s0, v12
	v_mad_u64_u32 v[4:5], s[0:1], v31, s62, 0
	v_and_b32_e32 v20, 3, v2
	v_xor_b32_e32 v2, v5, v13
	v_xor_b32_e32 v2, v2, v15
	s_mov_b32 s63, 0xcd9e8d57
	v_mad_u64_u32 v[6:7], s[0:1], v2, s63, 0
	v_xor_b32_e32 v2, v30, v7
	v_mad_u64_u32 v[8:9], s[0:1], v14, s63, 0
	v_xor_b32_e32 v2, v2, v8
	;; [unrolled: 2-line block ×3, first 2 shown]
	v_lshrrev_b32_e32 v32, 2, v3
	v_xor_b32_e32 v2, v2, v32
	v_xor_b32_e32 v5, v29, v11
	v_mad_u64_u32 v[2:3], s[0:1], v2, s62, 0
	v_xor_b32_e32 v2, v5, v2
	v_mad_u64_u32 v[8:9], s[0:1], v2, s63, 0
	s_mov_b32 s0, 0xbb67ae85
	v_add_co_u32_e32 v33, vcc, s0, v0
	v_xor_b32_e32 v2, v33, v3
	v_xor_b32_e32 v2, v2, v4
	v_xor_b32_e32 v5, v28, v9
	v_mad_u64_u32 v[2:3], s[0:1], v2, s63, 0
	v_xor_b32_e32 v2, v5, v2
	v_mad_u64_u32 v[4:5], s[0:1], v2, s62, 0
	s_mov_b32 s0, 0x3c6ef372
	v_add_co_u32_e32 v34, vcc, s0, v12
	v_xor_b32_e32 v2, v34, v3
	;; [unrolled: 8-line block ×6, first 2 shown]
	v_add_co_u32_e32 v23, vcc, 0xdb3d7428, v0
	v_xor_b32_e32 v2, v2, v6
	v_xor_b32_e32 v5, v23, v5
	v_mad_u64_u32 v[2:3], s[0:1], v2, s62, 0
	v_xor_b32_e32 v2, v5, v2
	v_mad_u64_u32 v[16:17], s[0:1], v2, s63, 0
	s_mov_b32 s0, 0x1fd5c5a3
	v_add_co_u32_e32 v39, vcc, s0, v0
	v_xor_b32_e32 v0, v39, v3
	v_xor_b32_e32 v0, v0, v10
	v_mad_u64_u32 v[2:3], s[0:1], v0, s63, 0
	s_mov_b32 s0, 0xf1bbcdc8
	s_load_dwordx8 s[8:15], s[4:5], 0x30
	v_add_u32_e32 v21, 0x8ff34781, v12
	v_xor_b32_e32 v0, v17, v2
	v_add_co_u32_e32 v40, vcc, s0, v12
	v_xor_b32_e32 v6, v21, v0
	v_xor_b32_e32 v0, v40, v3
	;; [unrolled: 1-line block ×3, first 2 shown]
	s_add_u32 s34, s4, 48
	v_mad_u64_u32 v[2:3], s[0:1], v0, s62, 0
	s_addc_u32 s35, s5, 0
	s_waitcnt lgkmcnt(0)
	s_add_i32 s0, s8, -1
	s_cmp_gt_u32 s0, 1
	s_cselect_b64 s[40:41], -1, 0
	s_cmp_lg_u32 s8, 0
	s_cselect_b64 s[42:43], -1, 0
	s_add_u32 s44, s4, 0xf4
	s_addc_u32 s45, s5, 0
	s_min_u32 s1, s0, 15
	s_cmp_gt_u32 s8, 1
	s_cselect_b64 s[46:47], -1, 0
	s_add_i32 s1, s1, 1
	s_mov_b32 s8, s13
	s_load_dwordx2 s[48:49], s[4:5], 0xf4
	s_load_dwordx4 s[28:31], s[4:5], 0x138
	s_lshl_b32 s13, s33, 1
	s_and_b32 s66, s1, 3
	s_cmp_lg_u32 s0, 2
	s_cselect_b64 s[50:51], -1, 0
	s_and_b32 s67, s1, 28
	s_mov_b32 s61, 0
	v_add_u32_e32 v22, 0x96a522ad, v13
	v_xor_b32_e32 v0, v3, v4
	s_cmp_lg_u32 s66, 0
	v_xor_b32_e32 v8, v22, v0
	v_mov_b32_e32 v7, v16
	v_mov_b32_e32 v9, v2
	s_mov_b32 s15, s61
	s_mul_i32 s64, s33, 3
	s_mov_b32 s65, s61
	s_mov_b64 s[52:53], 0
	s_cselect_b64 s[54:55], -1, 0
	s_mov_b32 s68, 0x3f7ffffe
	s_brev_b32 s69, 44
	s_brev_b32 s70, 18
	s_mov_b32 s71, 0xfe5163ab
	s_mov_b32 s72, 0x3c439041
	;; [unrolled: 1-line block ×10, first 2 shown]
	v_mov_b32_e32 v41, 0x3f93f425
	s_movk_i32 s81, 0x1f8
	v_mov_b32_e32 v42, 0x3f7ffffe
	v_bfrev_b32_e32 v43, 44
	v_not_b32_e32 v44, 63
	v_not_b32_e32 v45, 31
	v_mov_b32_e32 v46, 0x7fc00000
	v_mov_b32_e32 v47, v14
	v_mov_b32_e32 v48, v15
	s_branch .LBB11_9
.LBB11_7:                               ;   in Loop: Header=BB11_9 Depth=1
	s_or_b64 exec, exec, s[0:1]
	v_mul_f32_e32 v9, v0, v0
	v_mov_b32_e32 v10, 0xbf039337
	v_fmac_f32_e32 v10, 0x3c971480, v9
	v_fma_f32 v10, v9, v10, v41
	v_rcp_f32_e32 v10, v10
	v_mov_b32_e32 v11, 0x3ec54587
	v_fmac_f32_e32 v11, 0xbc8cedd3, v9
	v_and_b32_e32 v8, 1, v8
	v_mul_f32_e32 v10, v11, v10
	v_mul_f32_e32 v9, v9, v10
	v_fma_f32 v10, v9, v0, v0
	v_rcp_f32_e32 v11, v10
	v_sub_f32_e32 v17, v10, v0
	v_fma_f32 v0, v9, v0, -v17
	v_cmp_eq_u32_e32 vcc, 0, v8
	v_fma_f32 v9, v10, -v11, 1.0
	v_fma_f32 v0, v0, -v11, v9
	v_fma_f32 v0, v0, -v11, -v11
	v_cndmask_b32_e32 v0, v0, v10, vcc
	v_xor_b32_e32 v7, v7, v5
	v_xor_b32_e32 v0, v7, v0
	v_cmp_class_f32_e64 vcc, v5, s81
	v_cndmask_b32_e32 v0, v46, v0, vcc
	s_waitcnt lgkmcnt(0)
	v_mov_b32_e32 v5, s30
	v_fma_mixlo_f16 v0, s31, v0, v5
	global_store_short v6, v0, s[28:29]
.LBB11_8:                               ;   in Loop: Header=BB11_9 Depth=1
	s_or_b64 exec, exec, s[36:37]
	v_add_co_u32_e32 v14, vcc, s60, v14
	v_mov_b32_e32 v5, v16
	v_addc_co_u32_e32 v15, vcc, 0, v15, vcc
	v_cmp_le_i64_e32 vcc, s[26:27], v[14:15]
	v_pk_mov_b32 v[8:9], v[4:5], v[4:5] op_sel:[0,1]
	s_or_b64 s[52:53], vcc, s[52:53]
	v_pk_mov_b32 v[6:7], v[2:3], v[2:3] op_sel:[0,1]
	s_waitcnt lgkmcnt(0)
	s_barrier
	s_andn2_b64 exec, exec, s[52:53]
	s_cbranch_execz .LBB11_98
.LBB11_9:                               ; =>This Loop Header: Depth=1
                                        ;     Child Loop BB11_24 Depth 2
                                        ;     Child Loop BB11_30 Depth 2
	;; [unrolled: 1-line block ×8, first 2 shown]
	v_add_co_u32_e32 v31, vcc, 1, v31
	v_cndmask_b32_e64 v0, 0, 1, vcc
	v_addc_co_u32_e32 v32, vcc, 0, v32, vcc
	v_cmp_eq_u32_e32 vcc, 0, v32
	v_cndmask_b32_e32 v0, 0, v0, vcc
	v_add_u32_e32 v47, v0, v47
	v_cmp_eq_u32_e32 vcc, 0, v47
	v_cndmask_b32_e32 v0, 0, v0, vcc
	v_mad_u64_u32 v[2:3], s[0:1], v31, s62, 0
	v_mad_u64_u32 v[4:5], s[0:1], v47, s63, 0
	v_add_u32_e32 v48, v0, v48
	v_xor_b32_e32 v0, v5, v12
	v_xor_b32_e32 v3, v3, v13
	v_xor_b32_e32 v0, v32, v0
	v_xor_b32_e32 v3, v48, v3
	v_mad_u64_u32 v[10:11], s[0:1], v0, s62, 0
	v_mad_u64_u32 v[16:17], s[0:1], v3, s63, 0
	v_xor_b32_e32 v0, v30, v17
	v_xor_b32_e32 v3, v33, v11
	v_xor_b32_e32 v0, v0, v4
	v_xor_b32_e32 v4, v3, v2
	v_mad_u64_u32 v[2:3], s[0:1], v0, s62, 0
	v_mad_u64_u32 v[4:5], s[0:1], v4, s63, 0
	;; [unrolled: 6-line block ×9, first 2 shown]
	v_xor_b32_e32 v0, v11, v2
	v_xor_b32_e32 v2, v21, v0
	;; [unrolled: 1-line block ×4, first 2 shown]
	v_mov_b32_e32 v3, v10
	v_mov_b32_e32 v4, v11
	v_cmp_lt_i32_e32 vcc, 1, v20
	s_and_saveexec_b64 s[0:1], vcc
	s_xor_b64 s[0:1], exec, s[0:1]
	s_cbranch_execz .LBB11_15
; %bb.10:                               ;   in Loop: Header=BB11_9 Depth=1
	v_cmp_lt_i32_e32 vcc, 2, v20
	s_and_saveexec_b64 s[2:3], vcc
	s_xor_b64 s[2:3], exec, s[2:3]
; %bb.11:                               ;   in Loop: Header=BB11_9 Depth=1
	v_mov_b32_e32 v8, v9
	v_mov_b32_e32 v9, v2
	v_pk_mov_b32 v[6:7], v[8:9], v[8:9] op_sel:[0,1]
	v_pk_mov_b32 v[8:9], v[10:11], v[10:11] op_sel:[0,1]
                                        ; implicit-def: $vgpr10_vgpr11
; %bb.12:                               ;   in Loop: Header=BB11_9 Depth=1
	s_andn2_saveexec_b64 s[2:3], s[2:3]
; %bb.13:                               ;   in Loop: Header=BB11_9 Depth=1
	v_mov_b32_e32 v6, v8
	v_mov_b32_e32 v7, v9
	;; [unrolled: 1-line block ×4, first 2 shown]
; %bb.14:                               ;   in Loop: Header=BB11_9 Depth=1
	s_or_b64 exec, exec, s[2:3]
.LBB11_15:                              ;   in Loop: Header=BB11_9 Depth=1
	s_andn2_saveexec_b64 s[0:1], s[0:1]
	s_cbranch_execz .LBB11_19
; %bb.16:                               ;   in Loop: Header=BB11_9 Depth=1
	v_cmp_eq_u32_e32 vcc, 1, v20
	s_and_saveexec_b64 s[2:3], vcc
; %bb.17:                               ;   in Loop: Header=BB11_9 Depth=1
	v_mov_b32_e32 v6, v7
	v_mov_b32_e32 v7, v8
	;; [unrolled: 1-line block ×4, first 2 shown]
; %bb.18:                               ;   in Loop: Header=BB11_9 Depth=1
	s_or_b64 exec, exec, s[2:3]
.LBB11_19:                              ;   in Loop: Header=BB11_9 Depth=1
	s_or_b64 exec, exec, s[0:1]
	v_cndmask_b32_e64 v0, 0, 1, s[40:41]
	v_cmp_gt_i64_e32 vcc, s[24:25], v[14:15]
	v_cmp_ne_u32_e64 s[0:1], 1, v0
	s_and_saveexec_b64 s[56:57], vcc
	s_cbranch_execz .LBB11_39
; %bb.20:                               ;   in Loop: Header=BB11_9 Depth=1
	s_and_b64 vcc, exec, s[0:1]
	s_cbranch_vccnz .LBB11_26
; %bb.21:                               ;   in Loop: Header=BB11_9 Depth=1
	s_andn2_b64 vcc, exec, s[42:43]
	s_cbranch_vccnz .LBB11_27
; %bb.22:                               ;   in Loop: Header=BB11_9 Depth=1
	s_mov_b32 s4, 0
	s_andn2_b64 vcc, exec, s[50:51]
	v_mov_b32_e32 v10, 0
	s_cbranch_vccnz .LBB11_28
; %bb.23:                               ;   in Loop: Header=BB11_9 Depth=1
	s_mov_b32 s82, 0
	v_mov_b32_e32 v10, 0
	s_mov_b64 s[2:3], s[34:35]
	s_mov_b64 s[58:59], s[44:45]
	v_mov_b32_e32 v0, v14
.LBB11_24:                              ;   Parent Loop BB11_9 Depth=1
                                        ; =>  This Inner Loop Header: Depth=2
	s_load_dwordx8 s[16:23], s[2:3], 0x4
	s_load_dwordx4 s[4:7], s[2:3], 0x24
	s_load_dwordx4 s[36:39], s[58:59], 0x0
	s_add_u32 s2, s2, 48
	s_addc_u32 s3, s3, 0
	s_waitcnt lgkmcnt(0)
	v_mul_hi_u32 v5, s17, v0
	v_add_u32_e32 v5, v0, v5
	v_lshrrev_b32_e32 v5, s18, v5
	v_mul_lo_u32 v11, v5, s16
	v_mul_hi_u32 v17, s20, v5
	v_sub_u32_e32 v0, v0, v11
	v_add_u32_e32 v11, v5, v17
	v_lshrrev_b32_e32 v11, s21, v11
	v_mul_lo_u32 v17, v11, s19
	v_mul_hi_u32 v18, s23, v11
	v_sub_u32_e32 v5, v5, v17
	v_add_u32_e32 v17, v11, v18
	v_mul_lo_u32 v0, v0, s36
	v_mul_lo_u32 v5, v5, s37
	v_lshrrev_b32_e32 v17, s4, v17
	v_add3_u32 v5, v0, v10, v5
	v_mul_lo_u32 v0, v17, s22
	v_mul_hi_u32 v10, s6, v17
	v_sub_u32_e32 v0, v11, v0
	v_add_u32_e32 v10, v17, v10
	v_mul_lo_u32 v11, v0, s38
	v_lshrrev_b32_e32 v0, s7, v10
	s_add_i32 s82, s82, 4
	v_mul_lo_u32 v10, v0, s5
	s_add_u32 s58, s58, 16
	v_sub_u32_e32 v10, v17, v10
	s_addc_u32 s59, s59, 0
	v_mul_lo_u32 v10, v10, s39
	s_cmp_lg_u32 s67, s82
	v_add3_u32 v10, v11, v5, v10
	s_cbranch_scc1 .LBB11_24
; %bb.25:                               ;   in Loop: Header=BB11_9 Depth=1
	s_mov_b32 s4, s67
	s_andn2_b64 vcc, exec, s[54:55]
	s_cbranch_vccz .LBB11_29
	s_branch .LBB11_31
.LBB11_26:                              ;   in Loop: Header=BB11_9 Depth=1
                                        ; implicit-def: $vgpr10
	s_branch .LBB11_32
.LBB11_27:                              ;   in Loop: Header=BB11_9 Depth=1
	v_mov_b32_e32 v10, 0
	s_branch .LBB11_31
.LBB11_28:                              ;   in Loop: Header=BB11_9 Depth=1
	v_mov_b32_e32 v0, v14
	s_andn2_b64 vcc, exec, s[54:55]
	s_cbranch_vccnz .LBB11_31
.LBB11_29:                              ;   in Loop: Header=BB11_9 Depth=1
	s_lshl_b32 s2, s4, 2
	s_add_u32 s2, s44, s2
	s_addc_u32 s3, s45, 0
	s_mul_i32 s4, s4, 12
	s_add_u32 s4, s34, s4
	s_addc_u32 s5, s35, 0
	s_mov_b32 s6, s66
.LBB11_30:                              ;   Parent Loop BB11_9 Depth=1
                                        ; =>  This Inner Loop Header: Depth=2
	s_load_dwordx2 s[16:17], s[4:5], 0x4
	s_load_dword s7, s[4:5], 0xc
	s_load_dword s18, s[2:3], 0x0
	s_add_u32 s4, s4, 12
	s_addc_u32 s5, s5, 0
	s_waitcnt lgkmcnt(0)
	v_mul_hi_u32 v5, s17, v0
	v_add_u32_e32 v5, v0, v5
	v_lshrrev_b32_e32 v5, s7, v5
	s_add_u32 s2, s2, 4
	v_mul_lo_u32 v11, v5, s16
	s_addc_u32 s3, s3, 0
	s_add_i32 s6, s6, -1
	v_sub_u32_e32 v11, v0, v11
	s_cmp_lg_u32 s6, 0
	v_mov_b32_e32 v0, v5
	v_mad_u64_u32 v[10:11], s[16:17], v11, s18, v[10:11]
	s_cbranch_scc1 .LBB11_30
.LBB11_31:                              ;   in Loop: Header=BB11_9 Depth=1
	s_cbranch_execnz .LBB11_34
.LBB11_32:                              ;   in Loop: Header=BB11_9 Depth=1
	v_mul_hi_u32 v0, v14, s10
	v_add_u32_e32 v0, v0, v14
	v_lshrrev_b32_e32 v0, s11, v0
	v_mul_lo_u32 v5, v0, s9
	v_sub_u32_e32 v5, v14, v5
	s_andn2_b64 vcc, exec, s[46:47]
	s_waitcnt lgkmcnt(0)
	v_mul_lo_u32 v10, v5, s48
	s_cbranch_vccnz .LBB11_34
; %bb.33:                               ;   in Loop: Header=BB11_9 Depth=1
	v_mul_hi_u32 v5, s8, v0
	v_add_u32_e32 v5, v0, v5
	v_lshrrev_b32_e32 v5, s14, v5
	v_mul_lo_u32 v5, v5, s12
	v_sub_u32_e32 v0, v0, v5
	v_mad_u64_u32 v[10:11], s[2:3], v0, s49, v[10:11]
.LBB11_34:                              ;   in Loop: Header=BB11_9 Depth=1
	v_cvt_f32_u32_e32 v0, v6
	v_mov_b32_e32 v5, 0x2f800000
                                        ; implicit-def: $vgpr11
	v_fmac_f32_e32 v5, 0x2f800000, v0
	v_cmp_nlt_f32_e32 vcc, s68, v5
	v_cndmask_b32_e32 v0, v42, v5, vcc
	v_cmp_ngt_f32_e32 vcc, s69, v0
	v_cndmask_b32_e32 v0, v43, v0, vcc
	v_add_f32_e32 v0, -0.5, v0
	v_mul_f32_e32 v5, 0x40490fdb, v0
	v_and_b32_e32 v6, 0x7fffffff, v5
	v_cmp_nlt_f32_e64 s[2:3], |v5|, s70
                                        ; implicit-def: $vgpr0
	s_and_saveexec_b64 s[4:5], s[2:3]
	s_xor_b64 s[16:17], exec, s[4:5]
	s_cbranch_execz .LBB11_36
; %bb.35:                               ;   in Loop: Header=BB11_9 Depth=1
	v_lshrrev_b32_e32 v0, 23, v6
	v_add_u32_e32 v0, 0xffffff88, v0
	v_cmp_lt_u32_e32 vcc, 63, v0
	v_cndmask_b32_e32 v11, 0, v44, vcc
	v_add_u32_e32 v0, v11, v0
	v_cmp_lt_u32_e64 s[2:3], 31, v0
	v_cndmask_b32_e64 v11, 0, v45, s[2:3]
	v_add_u32_e32 v0, v11, v0
	v_cmp_lt_u32_e64 s[4:5], 31, v0
	v_cndmask_b32_e64 v11, 0, v45, s[4:5]
	v_add_u32_e32 v11, v11, v0
	v_and_b32_e32 v0, 0x7fffff, v6
	v_or_b32_e32 v17, 0x800000, v0
	v_mad_u64_u32 v[18:19], s[6:7], v17, s71, 0
	v_mov_b32_e32 v0, v19
	v_mad_u64_u32 v[50:51], s[6:7], v17, s72, v[0:1]
	v_mov_b32_e32 v0, v51
	;; [unrolled: 2-line block ×6, first 2 shown]
	v_mad_u64_u32 v[60:61], s[6:7], v17, s77, v[0:1]
	v_cndmask_b32_e32 v19, v58, v54, vcc
	v_cndmask_b32_e32 v0, v60, v56, vcc
	;; [unrolled: 1-line block ×3, first 2 shown]
	v_cndmask_b32_e64 v17, v0, v19, s[2:3]
	v_cndmask_b32_e64 v0, v49, v0, s[2:3]
	v_cndmask_b32_e32 v49, v56, v52, vcc
	v_cndmask_b32_e64 v19, v19, v49, s[2:3]
	v_cndmask_b32_e64 v0, v0, v17, s[4:5]
	;; [unrolled: 1-line block ×3, first 2 shown]
	v_sub_u32_e32 v51, 32, v11
	v_alignbit_b32 v53, v0, v17, v51
	v_cmp_eq_u32_e64 s[6:7], 0, v11
	v_cndmask_b32_e64 v11, v53, v0, s[6:7]
	v_cndmask_b32_e32 v0, v54, v50, vcc
	v_cndmask_b32_e64 v49, v49, v0, s[2:3]
	v_cndmask_b32_e64 v19, v19, v49, s[4:5]
	v_alignbit_b32 v50, v17, v19, v51
	v_cndmask_b32_e32 v18, v52, v18, vcc
	v_cndmask_b32_e64 v17, v50, v17, s[6:7]
	v_bfe_u32 v54, v11, 29, 1
	v_cndmask_b32_e64 v0, v0, v18, s[2:3]
	v_alignbit_b32 v50, v11, v17, 30
	v_sub_u32_e32 v55, 0, v54
	v_cndmask_b32_e64 v0, v49, v0, s[4:5]
	v_xor_b32_e32 v56, v50, v55
	v_alignbit_b32 v18, v19, v0, v51
	v_cndmask_b32_e64 v18, v18, v19, s[6:7]
	v_ffbh_u32_e32 v19, v56
	v_add_u32_e32 v19, 1, v19
	v_cmp_ne_u32_e32 vcc, v50, v55
	v_alignbit_b32 v17, v17, v18, 30
	v_cndmask_b32_e32 v19, 33, v19, vcc
	v_alignbit_b32 v0, v18, v0, 30
	v_xor_b32_e32 v17, v17, v55
	v_sub_u32_e32 v49, 32, v19
	v_xor_b32_e32 v0, v0, v55
	v_alignbit_b32 v50, v56, v17, v49
	v_alignbit_b32 v0, v17, v0, v49
	v_alignbit_b32 v17, v50, v0, 9
	v_ffbh_u32_e32 v18, v17
	v_min_u32_e32 v18, 32, v18
	v_lshrrev_b32_e32 v53, 29, v11
	v_sub_u32_e32 v49, 31, v18
	v_alignbit_b32 v0, v17, v0, v49
	v_lshlrev_b32_e32 v17, 31, v53
	v_or_b32_e32 v49, 0x33800000, v17
	v_add_lshl_u32 v18, v18, v19, 23
	v_lshrrev_b32_e32 v0, 9, v0
	v_sub_u32_e32 v18, v49, v18
	v_or_b32_e32 v0, v18, v0
	v_alignbit_b32 v18, v19, v50, 9
	v_or_b32_e32 v17, v18, v17
	v_xor_b32_e32 v17, 1.0, v17
	v_mul_f32_e32 v18, 0x3fc90fda, v17
	v_fma_f32 v19, v17, s78, -v18
	v_fmac_f32_e32 v19, 0x33a22168, v17
	v_fmac_f32_e32 v19, 0x3fc90fda, v0
	v_lshrrev_b32_e32 v11, 30, v11
	v_add_f32_e32 v0, v18, v19
	v_add_u32_e32 v11, v54, v11
.LBB11_36:                              ;   in Loop: Header=BB11_9 Depth=1
	s_andn2_saveexec_b64 s[2:3], s[16:17]
; %bb.37:                               ;   in Loop: Header=BB11_9 Depth=1
	v_mul_f32_e64 v0, |v5|, s79
	v_rndne_f32_e32 v17, v0
	v_cvt_i32_f32_e32 v11, v17
	v_fma_f32 v0, v17, s80, |v5|
	v_fmac_f32_e32 v0, 0xb3a22168, v17
	v_fmac_f32_e32 v0, 0xa7c234c4, v17
; %bb.38:                               ;   in Loop: Header=BB11_9 Depth=1
	s_or_b64 exec, exec, s[2:3]
	v_mul_f32_e32 v17, v0, v0
	v_mov_b32_e32 v18, 0xbf039337
	v_fmac_f32_e32 v18, 0x3c971480, v17
	v_fma_f32 v18, v17, v18, v41
	v_rcp_f32_e32 v18, v18
	v_mov_b32_e32 v19, 0x3ec54587
	v_fmac_f32_e32 v19, 0xbc8cedd3, v17
	v_and_b32_e32 v11, 1, v11
	v_mul_f32_e32 v18, v19, v18
	v_mul_f32_e32 v17, v17, v18
	v_fma_f32 v18, v17, v0, v0
	v_rcp_f32_e32 v19, v18
	v_sub_f32_e32 v49, v18, v0
	v_fma_f32 v0, v17, v0, -v49
	v_cmp_eq_u32_e32 vcc, 0, v11
	v_fma_f32 v17, v18, -v19, 1.0
	v_fma_f32 v0, v0, -v19, v17
	v_fma_f32 v0, v0, -v19, -v19
	v_cndmask_b32_e32 v0, v0, v18, vcc
	v_xor_b32_e32 v6, v6, v5
	v_xor_b32_e32 v0, v6, v0
	v_cmp_class_f32_e64 vcc, v5, s81
	v_cndmask_b32_e32 v0, v46, v0, vcc
	s_waitcnt lgkmcnt(0)
	v_mov_b32_e32 v5, s30
	v_fma_mixlo_f16 v0, s31, v0, v5
	global_store_short v10, v0, s[28:29]
.LBB11_39:                              ;   in Loop: Header=BB11_9 Depth=1
	s_or_b64 exec, exec, s[56:57]
	v_mov_b32_e32 v0, s61
	v_add_co_u32_e32 v18, vcc, s33, v14
	v_addc_co_u32_e32 v19, vcc, v15, v0, vcc
	v_cmp_gt_i64_e32 vcc, s[24:25], v[18:19]
	s_and_saveexec_b64 s[56:57], vcc
	s_cbranch_execz .LBB11_59
; %bb.40:                               ;   in Loop: Header=BB11_9 Depth=1
	s_and_b64 vcc, exec, s[0:1]
	s_cbranch_vccnz .LBB11_46
; %bb.41:                               ;   in Loop: Header=BB11_9 Depth=1
	s_andn2_b64 vcc, exec, s[42:43]
	s_cbranch_vccnz .LBB11_47
; %bb.42:                               ;   in Loop: Header=BB11_9 Depth=1
	s_mov_b32 s4, 0
	s_andn2_b64 vcc, exec, s[50:51]
	v_mov_b32_e32 v10, 0
	s_cbranch_vccnz .LBB11_48
; %bb.43:                               ;   in Loop: Header=BB11_9 Depth=1
	s_mov_b32 s82, 0
	v_mov_b32_e32 v10, 0
	s_mov_b64 s[2:3], s[34:35]
	s_mov_b64 s[58:59], s[44:45]
	v_mov_b32_e32 v0, v18
.LBB11_44:                              ;   Parent Loop BB11_9 Depth=1
                                        ; =>  This Inner Loop Header: Depth=2
	s_load_dwordx8 s[16:23], s[2:3], 0x4
	s_load_dwordx4 s[4:7], s[2:3], 0x24
	s_load_dwordx4 s[36:39], s[58:59], 0x0
	s_add_u32 s2, s2, 48
	s_addc_u32 s3, s3, 0
	s_waitcnt lgkmcnt(0)
	v_mul_hi_u32 v5, s17, v0
	v_add_u32_e32 v5, v0, v5
	v_lshrrev_b32_e32 v5, s18, v5
	v_mul_lo_u32 v6, v5, s16
	v_mul_hi_u32 v11, s20, v5
	v_sub_u32_e32 v0, v0, v6
	v_add_u32_e32 v6, v5, v11
	v_lshrrev_b32_e32 v6, s21, v6
	v_mul_lo_u32 v11, v6, s19
	v_mul_hi_u32 v17, s23, v6
	v_sub_u32_e32 v5, v5, v11
	v_add_u32_e32 v11, v6, v17
	v_mul_lo_u32 v0, v0, s36
	v_mul_lo_u32 v5, v5, s37
	v_lshrrev_b32_e32 v11, s4, v11
	v_add3_u32 v5, v0, v10, v5
	v_mul_lo_u32 v0, v11, s22
	v_mul_hi_u32 v10, s6, v11
	v_sub_u32_e32 v0, v6, v0
	v_add_u32_e32 v6, v11, v10
	v_mul_lo_u32 v10, v0, s38
	v_lshrrev_b32_e32 v0, s7, v6
	s_add_i32 s82, s82, 4
	v_mul_lo_u32 v6, v0, s5
	s_add_u32 s58, s58, 16
	v_sub_u32_e32 v6, v11, v6
	s_addc_u32 s59, s59, 0
	v_mul_lo_u32 v6, v6, s39
	s_cmp_eq_u32 s67, s82
	v_add3_u32 v10, v10, v5, v6
	s_cbranch_scc0 .LBB11_44
; %bb.45:                               ;   in Loop: Header=BB11_9 Depth=1
	s_mov_b32 s4, s67
	s_andn2_b64 vcc, exec, s[54:55]
	s_cbranch_vccz .LBB11_49
	s_branch .LBB11_51
.LBB11_46:                              ;   in Loop: Header=BB11_9 Depth=1
                                        ; implicit-def: $vgpr10
	s_branch .LBB11_52
.LBB11_47:                              ;   in Loop: Header=BB11_9 Depth=1
	v_mov_b32_e32 v10, 0
	s_branch .LBB11_51
.LBB11_48:                              ;   in Loop: Header=BB11_9 Depth=1
	v_mov_b32_e32 v0, v18
	s_andn2_b64 vcc, exec, s[54:55]
	s_cbranch_vccnz .LBB11_51
.LBB11_49:                              ;   in Loop: Header=BB11_9 Depth=1
	s_lshl_b32 s2, s4, 2
	s_add_u32 s2, s44, s2
	s_addc_u32 s3, s45, 0
	s_mul_i32 s4, s4, 12
	s_add_u32 s4, s34, s4
	s_addc_u32 s5, s35, 0
	s_mov_b32 s6, s66
.LBB11_50:                              ;   Parent Loop BB11_9 Depth=1
                                        ; =>  This Inner Loop Header: Depth=2
	s_load_dwordx2 s[16:17], s[4:5], 0x4
	s_load_dword s7, s[4:5], 0xc
	s_load_dword s18, s[2:3], 0x0
	s_add_u32 s4, s4, 12
	s_addc_u32 s5, s5, 0
	s_waitcnt lgkmcnt(0)
	v_mul_hi_u32 v5, s17, v0
	v_add_u32_e32 v5, v0, v5
	v_lshrrev_b32_e32 v5, s7, v5
	s_add_u32 s2, s2, 4
	v_mul_lo_u32 v6, v5, s16
	s_addc_u32 s3, s3, 0
	s_add_i32 s6, s6, -1
	v_sub_u32_e32 v6, v0, v6
	s_cmp_lg_u32 s6, 0
	v_mov_b32_e32 v0, v5
	v_mad_u64_u32 v[10:11], s[16:17], v6, s18, v[10:11]
	s_cbranch_scc1 .LBB11_50
.LBB11_51:                              ;   in Loop: Header=BB11_9 Depth=1
	s_cbranch_execnz .LBB11_54
.LBB11_52:                              ;   in Loop: Header=BB11_9 Depth=1
	v_mul_hi_u32 v0, v18, s10
	v_add_u32_e32 v0, v0, v18
	v_lshrrev_b32_e32 v0, s11, v0
	v_mul_lo_u32 v5, v0, s9
	v_sub_u32_e32 v5, v18, v5
	s_andn2_b64 vcc, exec, s[46:47]
	s_waitcnt lgkmcnt(0)
	v_mul_lo_u32 v10, v5, s48
	s_cbranch_vccnz .LBB11_54
; %bb.53:                               ;   in Loop: Header=BB11_9 Depth=1
	v_mul_hi_u32 v5, s8, v0
	v_add_u32_e32 v5, v0, v5
	v_lshrrev_b32_e32 v5, s14, v5
	v_mul_lo_u32 v5, v5, s12
	v_sub_u32_e32 v0, v0, v5
	v_mad_u64_u32 v[10:11], s[2:3], v0, s49, v[10:11]
.LBB11_54:                              ;   in Loop: Header=BB11_9 Depth=1
	v_cvt_f32_u32_e32 v0, v7
	v_mov_b32_e32 v5, 0x2f800000
                                        ; implicit-def: $vgpr7
	v_fmac_f32_e32 v5, 0x2f800000, v0
	v_cmp_nlt_f32_e32 vcc, s68, v5
	v_cndmask_b32_e32 v0, v42, v5, vcc
	v_cmp_ngt_f32_e32 vcc, s69, v0
	v_cndmask_b32_e32 v0, v43, v0, vcc
	v_add_f32_e32 v0, -0.5, v0
	v_mul_f32_e32 v5, 0x40490fdb, v0
	v_and_b32_e32 v6, 0x7fffffff, v5
	v_cmp_nlt_f32_e64 s[2:3], |v5|, s70
                                        ; implicit-def: $vgpr0
	s_and_saveexec_b64 s[4:5], s[2:3]
	s_xor_b64 s[16:17], exec, s[4:5]
	s_cbranch_execz .LBB11_56
; %bb.55:                               ;   in Loop: Header=BB11_9 Depth=1
	v_lshrrev_b32_e32 v0, 23, v6
	v_add_u32_e32 v0, 0xffffff88, v0
	v_cmp_lt_u32_e32 vcc, 63, v0
	v_cndmask_b32_e32 v7, 0, v44, vcc
	v_add_u32_e32 v0, v7, v0
	v_cmp_lt_u32_e64 s[2:3], 31, v0
	v_cndmask_b32_e64 v7, 0, v45, s[2:3]
	v_add_u32_e32 v0, v7, v0
	v_cmp_lt_u32_e64 s[4:5], 31, v0
	v_cndmask_b32_e64 v7, 0, v45, s[4:5]
	v_add_u32_e32 v7, v7, v0
	v_and_b32_e32 v0, 0x7fffff, v6
	v_or_b32_e32 v11, 0x800000, v0
	v_mad_u64_u32 v[18:19], s[6:7], v11, s71, 0
	v_mov_b32_e32 v0, v19
	v_mad_u64_u32 v[50:51], s[6:7], v11, s72, v[0:1]
	v_mov_b32_e32 v0, v51
	v_mad_u64_u32 v[52:53], s[6:7], v11, s73, v[0:1]
	v_mov_b32_e32 v0, v53
	v_mad_u64_u32 v[54:55], s[6:7], v11, s74, v[0:1]
	v_mov_b32_e32 v0, v55
	v_mad_u64_u32 v[56:57], s[6:7], v11, s75, v[0:1]
	v_mov_b32_e32 v0, v57
	v_mad_u64_u32 v[58:59], s[6:7], v11, s76, v[0:1]
	v_mov_b32_e32 v0, v59
	v_mad_u64_u32 v[60:61], s[6:7], v11, s77, v[0:1]
	v_cndmask_b32_e32 v17, v58, v54, vcc
	v_cndmask_b32_e32 v0, v60, v56, vcc
	v_cndmask_b32_e32 v19, v61, v58, vcc
	v_cndmask_b32_e64 v11, v0, v17, s[2:3]
	v_cndmask_b32_e64 v0, v19, v0, s[2:3]
	v_cndmask_b32_e32 v19, v56, v52, vcc
	v_cndmask_b32_e64 v17, v17, v19, s[2:3]
	v_cndmask_b32_e64 v0, v0, v11, s[4:5]
	;; [unrolled: 1-line block ×3, first 2 shown]
	v_sub_u32_e32 v49, 32, v7
	v_alignbit_b32 v51, v0, v11, v49
	v_cmp_eq_u32_e64 s[6:7], 0, v7
	v_cndmask_b32_e64 v7, v51, v0, s[6:7]
	v_cndmask_b32_e32 v0, v54, v50, vcc
	v_cndmask_b32_e64 v19, v19, v0, s[2:3]
	v_cndmask_b32_e64 v17, v17, v19, s[4:5]
	v_alignbit_b32 v50, v11, v17, v49
	v_cndmask_b32_e32 v18, v52, v18, vcc
	v_cndmask_b32_e64 v11, v50, v11, s[6:7]
	v_bfe_u32 v53, v7, 29, 1
	v_cndmask_b32_e64 v0, v0, v18, s[2:3]
	v_alignbit_b32 v50, v7, v11, 30
	v_sub_u32_e32 v54, 0, v53
	v_cndmask_b32_e64 v0, v19, v0, s[4:5]
	v_xor_b32_e32 v55, v50, v54
	v_alignbit_b32 v18, v17, v0, v49
	v_cndmask_b32_e64 v17, v18, v17, s[6:7]
	v_ffbh_u32_e32 v18, v55
	v_add_u32_e32 v18, 1, v18
	v_cmp_ne_u32_e32 vcc, v50, v54
	v_alignbit_b32 v11, v11, v17, 30
	v_cndmask_b32_e32 v18, 33, v18, vcc
	v_alignbit_b32 v0, v17, v0, 30
	v_xor_b32_e32 v11, v11, v54
	v_sub_u32_e32 v19, 32, v18
	v_xor_b32_e32 v0, v0, v54
	v_alignbit_b32 v49, v55, v11, v19
	v_alignbit_b32 v0, v11, v0, v19
	v_alignbit_b32 v11, v49, v0, 9
	v_ffbh_u32_e32 v17, v11
	v_min_u32_e32 v17, 32, v17
	v_lshrrev_b32_e32 v51, 29, v7
	v_sub_u32_e32 v19, 31, v17
	v_alignbit_b32 v0, v11, v0, v19
	v_lshlrev_b32_e32 v11, 31, v51
	v_or_b32_e32 v19, 0x33800000, v11
	v_add_lshl_u32 v17, v17, v18, 23
	v_lshrrev_b32_e32 v0, 9, v0
	v_sub_u32_e32 v17, v19, v17
	v_or_b32_e32 v0, v17, v0
	v_alignbit_b32 v17, v18, v49, 9
	v_or_b32_e32 v11, v17, v11
	v_xor_b32_e32 v11, 1.0, v11
	v_mul_f32_e32 v17, 0x3fc90fda, v11
	v_fma_f32 v18, v11, s78, -v17
	v_fmac_f32_e32 v18, 0x33a22168, v11
	v_fmac_f32_e32 v18, 0x3fc90fda, v0
	v_lshrrev_b32_e32 v7, 30, v7
	v_add_f32_e32 v0, v17, v18
	v_add_u32_e32 v7, v53, v7
.LBB11_56:                              ;   in Loop: Header=BB11_9 Depth=1
	s_andn2_saveexec_b64 s[2:3], s[16:17]
; %bb.57:                               ;   in Loop: Header=BB11_9 Depth=1
	v_mul_f32_e64 v0, |v5|, s79
	v_rndne_f32_e32 v11, v0
	v_cvt_i32_f32_e32 v7, v11
	v_fma_f32 v0, v11, s80, |v5|
	v_fmac_f32_e32 v0, 0xb3a22168, v11
	v_fmac_f32_e32 v0, 0xa7c234c4, v11
; %bb.58:                               ;   in Loop: Header=BB11_9 Depth=1
	s_or_b64 exec, exec, s[2:3]
	v_mul_f32_e32 v11, v0, v0
	v_mov_b32_e32 v17, 0xbf039337
	v_fmac_f32_e32 v17, 0x3c971480, v11
	v_fma_f32 v17, v11, v17, v41
	v_rcp_f32_e32 v17, v17
	v_mov_b32_e32 v18, 0x3ec54587
	v_fmac_f32_e32 v18, 0xbc8cedd3, v11
	v_and_b32_e32 v7, 1, v7
	v_mul_f32_e32 v17, v18, v17
	v_mul_f32_e32 v11, v11, v17
	v_fma_f32 v17, v11, v0, v0
	v_rcp_f32_e32 v18, v17
	v_sub_f32_e32 v19, v17, v0
	v_fma_f32 v0, v11, v0, -v19
	v_cmp_eq_u32_e32 vcc, 0, v7
	v_fma_f32 v11, v17, -v18, 1.0
	v_fma_f32 v0, v0, -v18, v11
	v_fma_f32 v0, v0, -v18, -v18
	v_cndmask_b32_e32 v0, v0, v17, vcc
	v_xor_b32_e32 v6, v6, v5
	v_xor_b32_e32 v0, v6, v0
	v_cmp_class_f32_e64 vcc, v5, s81
	v_cndmask_b32_e32 v0, v46, v0, vcc
	s_waitcnt lgkmcnt(0)
	v_mov_b32_e32 v5, s30
	v_fma_mixlo_f16 v0, s31, v0, v5
	global_store_short v10, v0, s[28:29]
.LBB11_59:                              ;   in Loop: Header=BB11_9 Depth=1
	s_or_b64 exec, exec, s[56:57]
	v_mov_b32_e32 v0, s15
	v_add_co_u32_e32 v10, vcc, s13, v14
	v_addc_co_u32_e32 v11, vcc, v15, v0, vcc
	v_cmp_gt_i64_e32 vcc, s[24:25], v[10:11]
	s_and_saveexec_b64 s[56:57], vcc
	s_cbranch_execz .LBB11_79
; %bb.60:                               ;   in Loop: Header=BB11_9 Depth=1
	s_and_b64 vcc, exec, s[0:1]
	s_cbranch_vccnz .LBB11_66
; %bb.61:                               ;   in Loop: Header=BB11_9 Depth=1
	s_andn2_b64 vcc, exec, s[42:43]
	s_cbranch_vccnz .LBB11_67
; %bb.62:                               ;   in Loop: Header=BB11_9 Depth=1
	s_mov_b32 s4, 0
	s_andn2_b64 vcc, exec, s[50:51]
	v_mov_b32_e32 v6, 0
	s_cbranch_vccnz .LBB11_68
; %bb.63:                               ;   in Loop: Header=BB11_9 Depth=1
	s_mov_b32 s82, 0
	v_mov_b32_e32 v6, 0
	s_mov_b64 s[2:3], s[34:35]
	s_mov_b64 s[58:59], s[44:45]
	v_mov_b32_e32 v0, v10
.LBB11_64:                              ;   Parent Loop BB11_9 Depth=1
                                        ; =>  This Inner Loop Header: Depth=2
	s_load_dwordx8 s[16:23], s[2:3], 0x4
	s_load_dwordx4 s[4:7], s[2:3], 0x24
	s_load_dwordx4 s[36:39], s[58:59], 0x0
	s_add_u32 s2, s2, 48
	s_addc_u32 s3, s3, 0
	s_waitcnt lgkmcnt(0)
	v_mul_hi_u32 v5, s17, v0
	v_add_u32_e32 v5, v0, v5
	v_lshrrev_b32_e32 v5, s18, v5
	v_mul_lo_u32 v7, v5, s16
	v_mul_hi_u32 v11, s20, v5
	v_sub_u32_e32 v0, v0, v7
	v_add_u32_e32 v7, v5, v11
	v_lshrrev_b32_e32 v7, s21, v7
	v_mul_lo_u32 v11, v7, s19
	v_mul_hi_u32 v17, s23, v7
	v_sub_u32_e32 v5, v5, v11
	v_add_u32_e32 v11, v7, v17
	v_mul_lo_u32 v0, v0, s36
	v_mul_lo_u32 v5, v5, s37
	v_lshrrev_b32_e32 v11, s4, v11
	v_add3_u32 v5, v0, v6, v5
	v_mul_lo_u32 v0, v11, s22
	v_mul_hi_u32 v6, s6, v11
	v_sub_u32_e32 v0, v7, v0
	v_add_u32_e32 v6, v11, v6
	v_mul_lo_u32 v7, v0, s38
	v_lshrrev_b32_e32 v0, s7, v6
	s_add_i32 s82, s82, 4
	v_mul_lo_u32 v6, v0, s5
	s_add_u32 s58, s58, 16
	v_sub_u32_e32 v6, v11, v6
	s_addc_u32 s59, s59, 0
	v_mul_lo_u32 v6, v6, s39
	s_cmp_eq_u32 s67, s82
	v_add3_u32 v6, v7, v5, v6
	s_cbranch_scc0 .LBB11_64
; %bb.65:                               ;   in Loop: Header=BB11_9 Depth=1
	s_mov_b32 s4, s67
	s_andn2_b64 vcc, exec, s[54:55]
	s_cbranch_vccz .LBB11_69
	s_branch .LBB11_71
.LBB11_66:                              ;   in Loop: Header=BB11_9 Depth=1
                                        ; implicit-def: $vgpr6
	s_branch .LBB11_72
.LBB11_67:                              ;   in Loop: Header=BB11_9 Depth=1
	v_mov_b32_e32 v6, 0
	s_branch .LBB11_71
.LBB11_68:                              ;   in Loop: Header=BB11_9 Depth=1
	v_mov_b32_e32 v0, v10
	s_andn2_b64 vcc, exec, s[54:55]
	s_cbranch_vccnz .LBB11_71
.LBB11_69:                              ;   in Loop: Header=BB11_9 Depth=1
	s_lshl_b32 s2, s4, 2
	s_add_u32 s2, s44, s2
	s_addc_u32 s3, s45, 0
	s_mul_i32 s4, s4, 12
	s_add_u32 s4, s34, s4
	s_addc_u32 s5, s35, 0
	s_mov_b32 s6, s66
.LBB11_70:                              ;   Parent Loop BB11_9 Depth=1
                                        ; =>  This Inner Loop Header: Depth=2
	s_load_dwordx2 s[16:17], s[4:5], 0x4
	s_load_dword s7, s[4:5], 0xc
	s_load_dword s18, s[2:3], 0x0
	s_add_u32 s4, s4, 12
	s_addc_u32 s5, s5, 0
	s_waitcnt lgkmcnt(0)
	v_mul_hi_u32 v5, s17, v0
	v_add_u32_e32 v5, v0, v5
	v_lshrrev_b32_e32 v5, s7, v5
	s_add_u32 s2, s2, 4
	v_mul_lo_u32 v7, v5, s16
	s_addc_u32 s3, s3, 0
	s_add_i32 s6, s6, -1
	v_sub_u32_e32 v7, v0, v7
	s_cmp_lg_u32 s6, 0
	v_mov_b32_e32 v0, v5
	v_mad_u64_u32 v[6:7], s[16:17], v7, s18, v[6:7]
	s_cbranch_scc1 .LBB11_70
.LBB11_71:                              ;   in Loop: Header=BB11_9 Depth=1
	s_cbranch_execnz .LBB11_74
.LBB11_72:                              ;   in Loop: Header=BB11_9 Depth=1
	v_mul_hi_u32 v0, v10, s10
	v_add_u32_e32 v0, v0, v10
	v_lshrrev_b32_e32 v0, s11, v0
	v_mul_lo_u32 v5, v0, s9
	v_sub_u32_e32 v5, v10, v5
	s_andn2_b64 vcc, exec, s[46:47]
	s_waitcnt lgkmcnt(0)
	v_mul_lo_u32 v6, v5, s48
	s_cbranch_vccnz .LBB11_74
; %bb.73:                               ;   in Loop: Header=BB11_9 Depth=1
	v_mul_hi_u32 v5, s8, v0
	v_add_u32_e32 v5, v0, v5
	v_lshrrev_b32_e32 v5, s14, v5
	v_mul_lo_u32 v5, v5, s12
	v_sub_u32_e32 v0, v0, v5
	v_mad_u64_u32 v[6:7], s[2:3], v0, s49, v[6:7]
.LBB11_74:                              ;   in Loop: Header=BB11_9 Depth=1
	v_cvt_f32_u32_e32 v0, v8
	v_mov_b32_e32 v5, 0x2f800000
                                        ; implicit-def: $vgpr8
	v_fmac_f32_e32 v5, 0x2f800000, v0
	v_cmp_nlt_f32_e32 vcc, s68, v5
	v_cndmask_b32_e32 v0, v42, v5, vcc
	v_cmp_ngt_f32_e32 vcc, s69, v0
	v_cndmask_b32_e32 v0, v43, v0, vcc
	v_add_f32_e32 v0, -0.5, v0
	v_mul_f32_e32 v5, 0x40490fdb, v0
	v_and_b32_e32 v7, 0x7fffffff, v5
	v_cmp_nlt_f32_e64 s[2:3], |v5|, s70
                                        ; implicit-def: $vgpr0
	s_and_saveexec_b64 s[4:5], s[2:3]
	s_xor_b64 s[16:17], exec, s[4:5]
	s_cbranch_execz .LBB11_76
; %bb.75:                               ;   in Loop: Header=BB11_9 Depth=1
	v_lshrrev_b32_e32 v0, 23, v7
	v_add_u32_e32 v0, 0xffffff88, v0
	v_cmp_lt_u32_e32 vcc, 63, v0
	v_cndmask_b32_e32 v8, 0, v44, vcc
	v_add_u32_e32 v0, v8, v0
	v_cmp_lt_u32_e64 s[2:3], 31, v0
	v_cndmask_b32_e64 v8, 0, v45, s[2:3]
	v_add_u32_e32 v0, v8, v0
	v_cmp_lt_u32_e64 s[4:5], 31, v0
	v_cndmask_b32_e64 v8, 0, v45, s[4:5]
	v_add_u32_e32 v8, v8, v0
	v_and_b32_e32 v0, 0x7fffff, v7
	v_or_b32_e32 v17, 0x800000, v0
	v_mad_u64_u32 v[10:11], s[6:7], v17, s71, 0
	v_mov_b32_e32 v0, v11
	v_mad_u64_u32 v[18:19], s[6:7], v17, s72, v[0:1]
	v_mov_b32_e32 v0, v19
	;; [unrolled: 2-line block ×6, first 2 shown]
	v_mad_u64_u32 v[58:59], s[6:7], v17, s77, v[0:1]
	v_cndmask_b32_e32 v11, v56, v52, vcc
	v_cndmask_b32_e32 v0, v58, v54, vcc
	;; [unrolled: 1-line block ×3, first 2 shown]
	v_cndmask_b32_e64 v17, v0, v11, s[2:3]
	v_cndmask_b32_e64 v0, v19, v0, s[2:3]
	v_cndmask_b32_e32 v19, v54, v50, vcc
	v_cndmask_b32_e64 v11, v11, v19, s[2:3]
	v_cndmask_b32_e64 v0, v0, v17, s[4:5]
	v_cndmask_b32_e64 v17, v17, v11, s[4:5]
	v_sub_u32_e32 v49, 32, v8
	v_alignbit_b32 v51, v0, v17, v49
	v_cmp_eq_u32_e64 s[6:7], 0, v8
	v_cndmask_b32_e64 v8, v51, v0, s[6:7]
	v_cndmask_b32_e32 v0, v52, v18, vcc
	v_cndmask_b32_e64 v18, v19, v0, s[2:3]
	v_cndmask_b32_e64 v11, v11, v18, s[4:5]
	v_cndmask_b32_e32 v10, v50, v10, vcc
	v_alignbit_b32 v19, v17, v11, v49
	v_cndmask_b32_e64 v0, v0, v10, s[2:3]
	v_cndmask_b32_e64 v17, v19, v17, s[6:7]
	v_bfe_u32 v52, v8, 29, 1
	v_cndmask_b32_e64 v0, v18, v0, s[4:5]
	v_alignbit_b32 v19, v8, v17, 30
	v_sub_u32_e32 v53, 0, v52
	v_alignbit_b32 v10, v11, v0, v49
	v_xor_b32_e32 v54, v19, v53
	v_cndmask_b32_e64 v10, v10, v11, s[6:7]
	v_alignbit_b32 v11, v17, v10, 30
	v_ffbh_u32_e32 v17, v54
	v_add_u32_e32 v17, 1, v17
	v_cmp_ne_u32_e32 vcc, v19, v53
	v_cndmask_b32_e32 v17, 33, v17, vcc
	v_alignbit_b32 v0, v10, v0, 30
	v_xor_b32_e32 v11, v11, v53
	v_sub_u32_e32 v18, 32, v17
	v_xor_b32_e32 v0, v0, v53
	v_alignbit_b32 v19, v54, v11, v18
	v_alignbit_b32 v0, v11, v0, v18
	;; [unrolled: 1-line block ×3, first 2 shown]
	v_ffbh_u32_e32 v11, v10
	v_min_u32_e32 v11, 32, v11
	v_lshrrev_b32_e32 v51, 29, v8
	v_sub_u32_e32 v18, 31, v11
	v_alignbit_b32 v0, v10, v0, v18
	v_lshlrev_b32_e32 v10, 31, v51
	v_or_b32_e32 v18, 0x33800000, v10
	v_add_lshl_u32 v11, v11, v17, 23
	v_lshrrev_b32_e32 v0, 9, v0
	v_sub_u32_e32 v11, v18, v11
	v_or_b32_e32 v0, v11, v0
	v_alignbit_b32 v11, v17, v19, 9
	v_or_b32_e32 v10, v11, v10
	v_xor_b32_e32 v10, 1.0, v10
	v_mul_f32_e32 v11, 0x3fc90fda, v10
	v_fma_f32 v17, v10, s78, -v11
	v_fmac_f32_e32 v17, 0x33a22168, v10
	v_fmac_f32_e32 v17, 0x3fc90fda, v0
	v_lshrrev_b32_e32 v8, 30, v8
	v_add_f32_e32 v0, v11, v17
	v_add_u32_e32 v8, v52, v8
.LBB11_76:                              ;   in Loop: Header=BB11_9 Depth=1
	s_andn2_saveexec_b64 s[2:3], s[16:17]
; %bb.77:                               ;   in Loop: Header=BB11_9 Depth=1
	v_mul_f32_e64 v0, |v5|, s79
	v_rndne_f32_e32 v10, v0
	v_cvt_i32_f32_e32 v8, v10
	v_fma_f32 v0, v10, s80, |v5|
	v_fmac_f32_e32 v0, 0xb3a22168, v10
	v_fmac_f32_e32 v0, 0xa7c234c4, v10
; %bb.78:                               ;   in Loop: Header=BB11_9 Depth=1
	s_or_b64 exec, exec, s[2:3]
	v_mul_f32_e32 v10, v0, v0
	v_mov_b32_e32 v11, 0xbf039337
	v_fmac_f32_e32 v11, 0x3c971480, v10
	v_fma_f32 v11, v10, v11, v41
	v_rcp_f32_e32 v11, v11
	v_mov_b32_e32 v17, 0x3ec54587
	v_fmac_f32_e32 v17, 0xbc8cedd3, v10
	v_and_b32_e32 v8, 1, v8
	v_mul_f32_e32 v11, v17, v11
	v_mul_f32_e32 v10, v10, v11
	v_fma_f32 v11, v10, v0, v0
	v_rcp_f32_e32 v17, v11
	v_sub_f32_e32 v18, v11, v0
	v_fma_f32 v0, v10, v0, -v18
	v_cmp_eq_u32_e32 vcc, 0, v8
	v_fma_f32 v10, v11, -v17, 1.0
	v_fma_f32 v0, v0, -v17, v10
	v_fma_f32 v0, v0, -v17, -v17
	v_cndmask_b32_e32 v0, v0, v11, vcc
	v_xor_b32_e32 v7, v7, v5
	v_xor_b32_e32 v0, v7, v0
	v_cmp_class_f32_e64 vcc, v5, s81
	v_cndmask_b32_e32 v0, v46, v0, vcc
	s_waitcnt lgkmcnt(0)
	v_mov_b32_e32 v5, s30
	v_fma_mixlo_f16 v0, s31, v0, v5
	global_store_short v6, v0, s[28:29]
.LBB11_79:                              ;   in Loop: Header=BB11_9 Depth=1
	s_or_b64 exec, exec, s[56:57]
	v_mov_b32_e32 v0, s65
	v_add_co_u32_e32 v10, vcc, s64, v14
	v_addc_co_u32_e32 v11, vcc, v15, v0, vcc
	v_cmp_gt_i64_e32 vcc, s[24:25], v[10:11]
	s_and_saveexec_b64 s[36:37], vcc
	s_cbranch_execz .LBB11_8
; %bb.80:                               ;   in Loop: Header=BB11_9 Depth=1
	s_and_b64 vcc, exec, s[0:1]
	s_cbranch_vccnz .LBB11_86
; %bb.81:                               ;   in Loop: Header=BB11_9 Depth=1
	s_andn2_b64 vcc, exec, s[42:43]
	s_cbranch_vccnz .LBB11_87
; %bb.82:                               ;   in Loop: Header=BB11_9 Depth=1
	s_mov_b32 s2, 0
	s_andn2_b64 vcc, exec, s[50:51]
	v_mov_b32_e32 v6, 0
	s_cbranch_vccnz .LBB11_88
; %bb.83:                               ;   in Loop: Header=BB11_9 Depth=1
	s_mov_b32 s58, 0
	v_mov_b32_e32 v6, 0
	s_mov_b64 s[38:39], s[34:35]
	s_mov_b64 s[56:57], s[44:45]
	v_mov_b32_e32 v0, v10
.LBB11_84:                              ;   Parent Loop BB11_9 Depth=1
                                        ; =>  This Inner Loop Header: Depth=2
	s_load_dwordx8 s[0:7], s[38:39], 0x4
	s_load_dwordx4 s[16:19], s[38:39], 0x24
	s_load_dwordx4 s[20:23], s[56:57], 0x0
	s_add_u32 s38, s38, 48
	s_addc_u32 s39, s39, 0
	s_waitcnt lgkmcnt(0)
	v_mul_hi_u32 v5, s1, v0
	v_add_u32_e32 v5, v0, v5
	v_lshrrev_b32_e32 v5, s2, v5
	v_mul_lo_u32 v7, v5, s0
	v_mul_hi_u32 v8, s4, v5
	v_sub_u32_e32 v0, v0, v7
	v_add_u32_e32 v7, v5, v8
	v_lshrrev_b32_e32 v7, s5, v7
	v_mul_lo_u32 v8, v7, s3
	v_mul_hi_u32 v11, s7, v7
	v_sub_u32_e32 v5, v5, v8
	v_add_u32_e32 v8, v7, v11
	v_mul_lo_u32 v0, v0, s20
	v_mul_lo_u32 v5, v5, s21
	v_lshrrev_b32_e32 v8, s16, v8
	v_add3_u32 v5, v0, v6, v5
	v_mul_lo_u32 v0, v8, s6
	v_mul_hi_u32 v6, s18, v8
	v_sub_u32_e32 v0, v7, v0
	v_add_u32_e32 v6, v8, v6
	v_mul_lo_u32 v7, v0, s22
	v_lshrrev_b32_e32 v0, s19, v6
	s_add_i32 s58, s58, 4
	v_mul_lo_u32 v6, v0, s17
	s_add_u32 s56, s56, 16
	v_sub_u32_e32 v6, v8, v6
	s_addc_u32 s57, s57, 0
	v_mul_lo_u32 v6, v6, s23
	s_cmp_eq_u32 s67, s58
	v_add3_u32 v6, v7, v5, v6
	s_cbranch_scc0 .LBB11_84
; %bb.85:                               ;   in Loop: Header=BB11_9 Depth=1
	s_mov_b32 s2, s67
	s_andn2_b64 vcc, exec, s[54:55]
	s_cbranch_vccz .LBB11_89
	s_branch .LBB11_91
.LBB11_86:                              ;   in Loop: Header=BB11_9 Depth=1
                                        ; implicit-def: $vgpr6
	s_branch .LBB11_92
.LBB11_87:                              ;   in Loop: Header=BB11_9 Depth=1
	v_mov_b32_e32 v6, 0
	s_branch .LBB11_91
.LBB11_88:                              ;   in Loop: Header=BB11_9 Depth=1
	v_mov_b32_e32 v0, v10
	s_andn2_b64 vcc, exec, s[54:55]
	s_cbranch_vccnz .LBB11_91
.LBB11_89:                              ;   in Loop: Header=BB11_9 Depth=1
	s_lshl_b32 s0, s2, 2
	s_add_u32 s0, s44, s0
	s_addc_u32 s1, s45, 0
	s_mul_i32 s2, s2, 12
	s_add_u32 s2, s34, s2
	s_addc_u32 s3, s35, 0
	s_mov_b32 s4, s66
.LBB11_90:                              ;   Parent Loop BB11_9 Depth=1
                                        ; =>  This Inner Loop Header: Depth=2
	s_load_dwordx2 s[6:7], s[2:3], 0x4
	s_load_dword s5, s[2:3], 0xc
	s_load_dword s16, s[0:1], 0x0
	s_add_u32 s2, s2, 12
	s_addc_u32 s3, s3, 0
	s_waitcnt lgkmcnt(0)
	v_mul_hi_u32 v5, s7, v0
	v_add_u32_e32 v5, v0, v5
	v_lshrrev_b32_e32 v5, s5, v5
	s_add_u32 s0, s0, 4
	v_mul_lo_u32 v7, v5, s6
	s_addc_u32 s1, s1, 0
	s_add_i32 s4, s4, -1
	v_sub_u32_e32 v7, v0, v7
	s_cmp_lg_u32 s4, 0
	v_mov_b32_e32 v0, v5
	v_mad_u64_u32 v[6:7], s[6:7], v7, s16, v[6:7]
	s_cbranch_scc1 .LBB11_90
.LBB11_91:                              ;   in Loop: Header=BB11_9 Depth=1
	s_cbranch_execnz .LBB11_94
.LBB11_92:                              ;   in Loop: Header=BB11_9 Depth=1
	v_mul_hi_u32 v0, v10, s10
	v_add_u32_e32 v0, v0, v10
	v_lshrrev_b32_e32 v0, s11, v0
	v_mul_lo_u32 v5, v0, s9
	v_sub_u32_e32 v5, v10, v5
	s_andn2_b64 vcc, exec, s[46:47]
	s_waitcnt lgkmcnt(0)
	v_mul_lo_u32 v6, v5, s48
	s_cbranch_vccnz .LBB11_94
; %bb.93:                               ;   in Loop: Header=BB11_9 Depth=1
	v_mul_hi_u32 v5, s8, v0
	v_add_u32_e32 v5, v0, v5
	v_lshrrev_b32_e32 v5, s14, v5
	v_mul_lo_u32 v5, v5, s12
	v_sub_u32_e32 v0, v0, v5
	v_mad_u64_u32 v[6:7], s[0:1], v0, s49, v[6:7]
.LBB11_94:                              ;   in Loop: Header=BB11_9 Depth=1
	v_cvt_f32_u32_e32 v0, v9
	v_mov_b32_e32 v5, 0x2f800000
                                        ; implicit-def: $vgpr8
	v_fmac_f32_e32 v5, 0x2f800000, v0
	v_cmp_nlt_f32_e32 vcc, s68, v5
	v_cndmask_b32_e32 v0, v42, v5, vcc
	v_cmp_ngt_f32_e32 vcc, s69, v0
	v_cndmask_b32_e32 v0, v43, v0, vcc
	v_add_f32_e32 v0, -0.5, v0
	v_mul_f32_e32 v5, 0x40490fdb, v0
	v_and_b32_e32 v7, 0x7fffffff, v5
	v_cmp_nlt_f32_e64 s[0:1], |v5|, s70
                                        ; implicit-def: $vgpr0
	s_and_saveexec_b64 s[2:3], s[0:1]
	s_xor_b64 s[6:7], exec, s[2:3]
	s_cbranch_execz .LBB11_96
; %bb.95:                               ;   in Loop: Header=BB11_9 Depth=1
	v_lshrrev_b32_e32 v0, 23, v7
	v_add_u32_e32 v0, 0xffffff88, v0
	v_cmp_lt_u32_e32 vcc, 63, v0
	v_cndmask_b32_e32 v8, 0, v44, vcc
	v_add_u32_e32 v0, v8, v0
	v_cmp_lt_u32_e64 s[0:1], 31, v0
	v_cndmask_b32_e64 v8, 0, v45, s[0:1]
	v_add_u32_e32 v0, v8, v0
	v_cmp_lt_u32_e64 s[2:3], 31, v0
	v_cndmask_b32_e64 v8, 0, v45, s[2:3]
	v_add_u32_e32 v17, v8, v0
	v_and_b32_e32 v0, 0x7fffff, v7
	v_or_b32_e32 v49, 0x800000, v0
	v_mad_u64_u32 v[8:9], s[4:5], v49, s71, 0
	v_mov_b32_e32 v0, v9
	v_mad_u64_u32 v[10:11], s[4:5], v49, s72, v[0:1]
	v_mov_b32_e32 v0, v11
	;; [unrolled: 2-line block ×6, first 2 shown]
	v_mad_u64_u32 v[56:57], s[4:5], v49, s77, v[0:1]
	v_cndmask_b32_e32 v9, v54, v50, vcc
	v_cndmask_b32_e32 v0, v56, v52, vcc
	;; [unrolled: 1-line block ×3, first 2 shown]
	v_cndmask_b32_e64 v11, v0, v9, s[0:1]
	v_cndmask_b32_e64 v0, v19, v0, s[0:1]
	v_cndmask_b32_e32 v19, v52, v18, vcc
	v_cndmask_b32_e64 v9, v9, v19, s[0:1]
	v_cndmask_b32_e64 v0, v0, v11, s[2:3]
	;; [unrolled: 1-line block ×3, first 2 shown]
	v_sub_u32_e32 v49, 32, v17
	v_alignbit_b32 v51, v0, v11, v49
	v_cmp_eq_u32_e64 s[4:5], 0, v17
	v_cndmask_b32_e64 v17, v51, v0, s[4:5]
	v_cndmask_b32_e32 v0, v50, v10, vcc
	v_cndmask_b32_e64 v10, v19, v0, s[0:1]
	v_cndmask_b32_e64 v9, v9, v10, s[2:3]
	v_alignbit_b32 v19, v11, v9, v49
	v_cndmask_b32_e64 v11, v19, v11, s[4:5]
	v_bfe_u32 v51, v17, 29, 1
	v_cndmask_b32_e32 v8, v18, v8, vcc
	v_alignbit_b32 v19, v17, v11, 30
	v_sub_u32_e32 v52, 0, v51
	v_cndmask_b32_e64 v0, v0, v8, s[0:1]
	v_xor_b32_e32 v53, v19, v52
	v_cndmask_b32_e64 v0, v10, v0, s[2:3]
	v_alignbit_b32 v8, v9, v0, v49
	v_ffbh_u32_e32 v10, v53
	v_cndmask_b32_e64 v8, v8, v9, s[4:5]
	v_add_u32_e32 v10, 1, v10
	v_cmp_ne_u32_e32 vcc, v19, v52
	v_alignbit_b32 v9, v11, v8, 30
	v_cndmask_b32_e32 v10, 33, v10, vcc
	v_alignbit_b32 v0, v8, v0, 30
	v_xor_b32_e32 v9, v9, v52
	v_sub_u32_e32 v11, 32, v10
	v_xor_b32_e32 v0, v0, v52
	v_alignbit_b32 v18, v53, v9, v11
	v_alignbit_b32 v0, v9, v0, v11
	;; [unrolled: 1-line block ×3, first 2 shown]
	v_ffbh_u32_e32 v9, v8
	v_min_u32_e32 v9, 32, v9
	v_lshrrev_b32_e32 v50, 29, v17
	v_sub_u32_e32 v11, 31, v9
	v_alignbit_b32 v0, v8, v0, v11
	v_lshlrev_b32_e32 v8, 31, v50
	v_or_b32_e32 v11, 0x33800000, v8
	v_add_lshl_u32 v9, v9, v10, 23
	v_lshrrev_b32_e32 v0, 9, v0
	v_sub_u32_e32 v9, v11, v9
	v_or_b32_e32 v0, v9, v0
	v_alignbit_b32 v9, v10, v18, 9
	v_or_b32_e32 v8, v9, v8
	v_xor_b32_e32 v8, 1.0, v8
	v_mul_f32_e32 v9, 0x3fc90fda, v8
	v_fma_f32 v10, v8, s78, -v9
	v_fmac_f32_e32 v10, 0x33a22168, v8
	v_fmac_f32_e32 v10, 0x3fc90fda, v0
	v_lshrrev_b32_e32 v8, 30, v17
	v_add_f32_e32 v0, v9, v10
	v_add_u32_e32 v8, v51, v8
.LBB11_96:                              ;   in Loop: Header=BB11_9 Depth=1
	s_andn2_saveexec_b64 s[0:1], s[6:7]
	s_cbranch_execz .LBB11_7
; %bb.97:                               ;   in Loop: Header=BB11_9 Depth=1
	v_mul_f32_e64 v0, |v5|, s79
	v_rndne_f32_e32 v9, v0
	v_cvt_i32_f32_e32 v8, v9
	v_fma_f32 v0, v9, s80, |v5|
	v_fmac_f32_e32 v0, 0xb3a22168, v9
	v_fmac_f32_e32 v0, 0xa7c234c4, v9
	s_branch .LBB11_7
.LBB11_98:
	s_endpgm
.LBB11_99:
                                        ; implicit-def: $sgpr2_sgpr3
	s_andn2_b64 vcc, exec, s[0:1]
	s_cbranch_vccz .LBB11_4
	s_branch .LBB11_5
	.section	.rodata,"a",@progbits
	.p2align	6, 0x0
	.amdhsa_kernel _ZN2at6native12_GLOBAL__N_143distribution_elementwise_grid_stride_kernelIfLi4EZNS0_9templates4cuda21uniform_and_transformIN3c104HalfEfPNS_17CUDAGeneratorImplEZZZNS4_13cauchy_kernelIS9_EEvRNS_18TensorIteratorBaseEddT_ENKUlvE_clEvENKUlvE1_clEvEUlfE_EEvSC_T1_T2_EUlP25hiprandStatePhilox4_32_10E0_ZNS1_27distribution_nullary_kernelIS7_f15HIP_vector_typeIfLj4EES9_SL_SG_EEvSC_SI_RKT3_T4_EUlifE0_EEvlNS_15PhiloxCudaStateESH_SI_
		.amdhsa_group_segment_fixed_size 0
		.amdhsa_private_segment_fixed_size 0
		.amdhsa_kernarg_size 584
		.amdhsa_user_sgpr_count 6
		.amdhsa_user_sgpr_private_segment_buffer 1
		.amdhsa_user_sgpr_dispatch_ptr 0
		.amdhsa_user_sgpr_queue_ptr 0
		.amdhsa_user_sgpr_kernarg_segment_ptr 1
		.amdhsa_user_sgpr_dispatch_id 0
		.amdhsa_user_sgpr_flat_scratch_init 0
		.amdhsa_user_sgpr_kernarg_preload_length 0
		.amdhsa_user_sgpr_kernarg_preload_offset 0
		.amdhsa_user_sgpr_private_segment_size 0
		.amdhsa_uses_dynamic_stack 0
		.amdhsa_system_sgpr_private_segment_wavefront_offset 0
		.amdhsa_system_sgpr_workgroup_id_x 1
		.amdhsa_system_sgpr_workgroup_id_y 0
		.amdhsa_system_sgpr_workgroup_id_z 0
		.amdhsa_system_sgpr_workgroup_info 0
		.amdhsa_system_vgpr_workitem_id 0
		.amdhsa_next_free_vgpr 62
		.amdhsa_next_free_sgpr 83
		.amdhsa_accum_offset 64
		.amdhsa_reserve_vcc 1
		.amdhsa_reserve_flat_scratch 0
		.amdhsa_float_round_mode_32 0
		.amdhsa_float_round_mode_16_64 0
		.amdhsa_float_denorm_mode_32 3
		.amdhsa_float_denorm_mode_16_64 3
		.amdhsa_dx10_clamp 1
		.amdhsa_ieee_mode 1
		.amdhsa_fp16_overflow 0
		.amdhsa_tg_split 0
		.amdhsa_exception_fp_ieee_invalid_op 0
		.amdhsa_exception_fp_denorm_src 0
		.amdhsa_exception_fp_ieee_div_zero 0
		.amdhsa_exception_fp_ieee_overflow 0
		.amdhsa_exception_fp_ieee_underflow 0
		.amdhsa_exception_fp_ieee_inexact 0
		.amdhsa_exception_int_div_zero 0
	.end_amdhsa_kernel
	.section	.text._ZN2at6native12_GLOBAL__N_143distribution_elementwise_grid_stride_kernelIfLi4EZNS0_9templates4cuda21uniform_and_transformIN3c104HalfEfPNS_17CUDAGeneratorImplEZZZNS4_13cauchy_kernelIS9_EEvRNS_18TensorIteratorBaseEddT_ENKUlvE_clEvENKUlvE1_clEvEUlfE_EEvSC_T1_T2_EUlP25hiprandStatePhilox4_32_10E0_ZNS1_27distribution_nullary_kernelIS7_f15HIP_vector_typeIfLj4EES9_SL_SG_EEvSC_SI_RKT3_T4_EUlifE0_EEvlNS_15PhiloxCudaStateESH_SI_,"axG",@progbits,_ZN2at6native12_GLOBAL__N_143distribution_elementwise_grid_stride_kernelIfLi4EZNS0_9templates4cuda21uniform_and_transformIN3c104HalfEfPNS_17CUDAGeneratorImplEZZZNS4_13cauchy_kernelIS9_EEvRNS_18TensorIteratorBaseEddT_ENKUlvE_clEvENKUlvE1_clEvEUlfE_EEvSC_T1_T2_EUlP25hiprandStatePhilox4_32_10E0_ZNS1_27distribution_nullary_kernelIS7_f15HIP_vector_typeIfLj4EES9_SL_SG_EEvSC_SI_RKT3_T4_EUlifE0_EEvlNS_15PhiloxCudaStateESH_SI_,comdat
.Lfunc_end11:
	.size	_ZN2at6native12_GLOBAL__N_143distribution_elementwise_grid_stride_kernelIfLi4EZNS0_9templates4cuda21uniform_and_transformIN3c104HalfEfPNS_17CUDAGeneratorImplEZZZNS4_13cauchy_kernelIS9_EEvRNS_18TensorIteratorBaseEddT_ENKUlvE_clEvENKUlvE1_clEvEUlfE_EEvSC_T1_T2_EUlP25hiprandStatePhilox4_32_10E0_ZNS1_27distribution_nullary_kernelIS7_f15HIP_vector_typeIfLj4EES9_SL_SG_EEvSC_SI_RKT3_T4_EUlifE0_EEvlNS_15PhiloxCudaStateESH_SI_, .Lfunc_end11-_ZN2at6native12_GLOBAL__N_143distribution_elementwise_grid_stride_kernelIfLi4EZNS0_9templates4cuda21uniform_and_transformIN3c104HalfEfPNS_17CUDAGeneratorImplEZZZNS4_13cauchy_kernelIS9_EEvRNS_18TensorIteratorBaseEddT_ENKUlvE_clEvENKUlvE1_clEvEUlfE_EEvSC_T1_T2_EUlP25hiprandStatePhilox4_32_10E0_ZNS1_27distribution_nullary_kernelIS7_f15HIP_vector_typeIfLj4EES9_SL_SG_EEvSC_SI_RKT3_T4_EUlifE0_EEvlNS_15PhiloxCudaStateESH_SI_
                                        ; -- End function
	.section	.AMDGPU.csdata,"",@progbits
; Kernel info:
; codeLenInByte = 7656
; NumSgprs: 87
; NumVgprs: 62
; NumAgprs: 0
; TotalNumVgprs: 62
; ScratchSize: 0
; MemoryBound: 0
; FloatMode: 240
; IeeeMode: 1
; LDSByteSize: 0 bytes/workgroup (compile time only)
; SGPRBlocks: 10
; VGPRBlocks: 7
; NumSGPRsForWavesPerEU: 87
; NumVGPRsForWavesPerEU: 62
; AccumOffset: 64
; Occupancy: 8
; WaveLimiterHint : 1
; COMPUTE_PGM_RSRC2:SCRATCH_EN: 0
; COMPUTE_PGM_RSRC2:USER_SGPR: 6
; COMPUTE_PGM_RSRC2:TRAP_HANDLER: 0
; COMPUTE_PGM_RSRC2:TGID_X_EN: 1
; COMPUTE_PGM_RSRC2:TGID_Y_EN: 0
; COMPUTE_PGM_RSRC2:TGID_Z_EN: 0
; COMPUTE_PGM_RSRC2:TIDIG_COMP_CNT: 0
; COMPUTE_PGM_RSRC3_GFX90A:ACCUM_OFFSET: 15
; COMPUTE_PGM_RSRC3_GFX90A:TG_SPLIT: 0
	.section	.text._ZN2at6native12_GLOBAL__N_143distribution_elementwise_grid_stride_kernelIfLi4EZNS0_9templates4cuda21uniform_and_transformIN3c108BFloat16EfPNS_17CUDAGeneratorImplEZZZNS4_13cauchy_kernelIS9_EEvRNS_18TensorIteratorBaseEddT_ENKUlvE_clEvENKUlvE2_clEvEUlfE_EEvSC_T1_T2_EUlP25hiprandStatePhilox4_32_10E_ZNS1_27distribution_nullary_kernelIS7_f15HIP_vector_typeIdLj2EES9_SL_SG_EEvSC_SI_RKT3_T4_EUlifE_EEvlNS_15PhiloxCudaStateESH_SI_,"axG",@progbits,_ZN2at6native12_GLOBAL__N_143distribution_elementwise_grid_stride_kernelIfLi4EZNS0_9templates4cuda21uniform_and_transformIN3c108BFloat16EfPNS_17CUDAGeneratorImplEZZZNS4_13cauchy_kernelIS9_EEvRNS_18TensorIteratorBaseEddT_ENKUlvE_clEvENKUlvE2_clEvEUlfE_EEvSC_T1_T2_EUlP25hiprandStatePhilox4_32_10E_ZNS1_27distribution_nullary_kernelIS7_f15HIP_vector_typeIdLj2EES9_SL_SG_EEvSC_SI_RKT3_T4_EUlifE_EEvlNS_15PhiloxCudaStateESH_SI_,comdat
	.globl	_ZN2at6native12_GLOBAL__N_143distribution_elementwise_grid_stride_kernelIfLi4EZNS0_9templates4cuda21uniform_and_transformIN3c108BFloat16EfPNS_17CUDAGeneratorImplEZZZNS4_13cauchy_kernelIS9_EEvRNS_18TensorIteratorBaseEddT_ENKUlvE_clEvENKUlvE2_clEvEUlfE_EEvSC_T1_T2_EUlP25hiprandStatePhilox4_32_10E_ZNS1_27distribution_nullary_kernelIS7_f15HIP_vector_typeIdLj2EES9_SL_SG_EEvSC_SI_RKT3_T4_EUlifE_EEvlNS_15PhiloxCudaStateESH_SI_ ; -- Begin function _ZN2at6native12_GLOBAL__N_143distribution_elementwise_grid_stride_kernelIfLi4EZNS0_9templates4cuda21uniform_and_transformIN3c108BFloat16EfPNS_17CUDAGeneratorImplEZZZNS4_13cauchy_kernelIS9_EEvRNS_18TensorIteratorBaseEddT_ENKUlvE_clEvENKUlvE2_clEvEUlfE_EEvSC_T1_T2_EUlP25hiprandStatePhilox4_32_10E_ZNS1_27distribution_nullary_kernelIS7_f15HIP_vector_typeIdLj2EES9_SL_SG_EEvSC_SI_RKT3_T4_EUlifE_EEvlNS_15PhiloxCudaStateESH_SI_
	.p2align	8
	.type	_ZN2at6native12_GLOBAL__N_143distribution_elementwise_grid_stride_kernelIfLi4EZNS0_9templates4cuda21uniform_and_transformIN3c108BFloat16EfPNS_17CUDAGeneratorImplEZZZNS4_13cauchy_kernelIS9_EEvRNS_18TensorIteratorBaseEddT_ENKUlvE_clEvENKUlvE2_clEvEUlfE_EEvSC_T1_T2_EUlP25hiprandStatePhilox4_32_10E_ZNS1_27distribution_nullary_kernelIS7_f15HIP_vector_typeIdLj2EES9_SL_SG_EEvSC_SI_RKT3_T4_EUlifE_EEvlNS_15PhiloxCudaStateESH_SI_,@function
_ZN2at6native12_GLOBAL__N_143distribution_elementwise_grid_stride_kernelIfLi4EZNS0_9templates4cuda21uniform_and_transformIN3c108BFloat16EfPNS_17CUDAGeneratorImplEZZZNS4_13cauchy_kernelIS9_EEvRNS_18TensorIteratorBaseEddT_ENKUlvE_clEvENKUlvE2_clEvEUlfE_EEvSC_T1_T2_EUlP25hiprandStatePhilox4_32_10E_ZNS1_27distribution_nullary_kernelIS7_f15HIP_vector_typeIdLj2EES9_SL_SG_EEvSC_SI_RKT3_T4_EUlifE_EEvlNS_15PhiloxCudaStateESH_SI_: ; @_ZN2at6native12_GLOBAL__N_143distribution_elementwise_grid_stride_kernelIfLi4EZNS0_9templates4cuda21uniform_and_transformIN3c108BFloat16EfPNS_17CUDAGeneratorImplEZZZNS4_13cauchy_kernelIS9_EEvRNS_18TensorIteratorBaseEddT_ENKUlvE_clEvENKUlvE2_clEvEUlfE_EEvSC_T1_T2_EUlP25hiprandStatePhilox4_32_10E_ZNS1_27distribution_nullary_kernelIS7_f15HIP_vector_typeIdLj2EES9_SL_SG_EEvSC_SI_RKT3_T4_EUlifE_EEvlNS_15PhiloxCudaStateESH_SI_
; %bb.0:
	s_load_dword s2, s[4:5], 0x20
	s_load_dwordx2 s[0:1], s[4:5], 0x10
	s_load_dwordx4 s[8:11], s[4:5], 0x0
	s_waitcnt lgkmcnt(0)
	s_bitcmp0_b32 s2, 0
	s_mov_b32 s2, 0
	v_pk_mov_b32 v[2:3], s[0:1], s[0:1] op_sel:[0,1]
	v_pk_mov_b32 v[12:13], s[10:11], s[10:11] op_sel:[0,1]
	s_cbranch_scc1 .LBB12_2
; %bb.1:
	v_pk_mov_b32 v[2:3], s[0:1], s[0:1] op_sel:[0,1]
	flat_load_dwordx2 v[2:3], v[2:3]
	v_pk_mov_b32 v[4:5], s[10:11], s[10:11] op_sel:[0,1]
	flat_load_dwordx2 v[12:13], v[4:5]
	s_load_dwordx2 s[0:1], s[4:5], 0x18
	s_waitcnt lgkmcnt(0)
	v_mov_b32_e32 v1, s1
	s_waitcnt vmcnt(0)
	v_add_co_u32_e32 v2, vcc, s0, v2
	v_addc_co_u32_e32 v3, vcc, v3, v1, vcc
.LBB12_2:
	s_load_dword s0, s[4:5], 0x54
	s_load_dword s18, s[4:5], 0x48
	s_waitcnt lgkmcnt(0)
	s_and_b32 s7, s0, 0xffff
	s_add_u32 s10, s8, -1
	s_mul_i32 s22, s18, s7
	s_addc_u32 s3, s9, -1
	s_lshl_b32 s23, s22, 2
	s_cmp_lg_u64 s[2:3], 0
	s_mov_b64 s[0:1], -1
	s_cbranch_scc0 .LBB12_31
; %bb.3:
	v_cvt_f32_u32_e32 v1, s23
	v_cvt_f32_ubyte0_e32 v4, 0
	s_sub_u32 s2, 0, s23
	s_subb_u32 s11, 0, 0
	v_madmk_f32 v1, v4, 0x4f800000, v1
	v_rcp_f32_e32 v1, v1
	v_mul_f32_e32 v1, 0x5f7ffffc, v1
	v_mul_f32_e32 v4, 0x2f800000, v1
	v_trunc_f32_e32 v4, v4
	v_madmk_f32 v1, v4, 0xcf800000, v1
	v_cvt_u32_f32_e32 v4, v4
	v_cvt_u32_f32_e32 v1, v1
	v_readfirstlane_b32 s12, v4
	v_readfirstlane_b32 s13, v1
	s_mul_i32 s14, s2, s12
	s_mul_hi_u32 s16, s2, s13
	s_mul_i32 s15, s11, s13
	s_add_i32 s14, s16, s14
	s_add_i32 s14, s14, s15
	s_mul_i32 s17, s2, s13
	s_mul_hi_u32 s15, s13, s14
	s_mul_i32 s16, s13, s14
	s_mul_hi_u32 s13, s13, s17
	s_add_u32 s13, s13, s16
	s_addc_u32 s15, 0, s15
	s_mul_hi_u32 s19, s12, s17
	s_mul_i32 s17, s12, s17
	s_add_u32 s13, s13, s17
	s_mul_hi_u32 s16, s12, s14
	s_addc_u32 s13, s15, s19
	s_addc_u32 s15, s16, 0
	s_mul_i32 s14, s12, s14
	s_add_u32 s13, s13, s14
	s_addc_u32 s14, 0, s15
	v_add_co_u32_e32 v1, vcc, s13, v1
	s_cmp_lg_u64 vcc, 0
	s_addc_u32 s12, s12, s14
	v_readfirstlane_b32 s14, v1
	s_mul_i32 s13, s2, s12
	s_mul_hi_u32 s15, s2, s14
	s_add_i32 s13, s15, s13
	s_mul_i32 s11, s11, s14
	s_add_i32 s13, s13, s11
	s_mul_i32 s2, s2, s14
	s_mul_hi_u32 s15, s12, s2
	s_mul_i32 s16, s12, s2
	s_mul_i32 s19, s14, s13
	s_mul_hi_u32 s2, s14, s2
	s_mul_hi_u32 s17, s14, s13
	s_add_u32 s2, s2, s19
	s_addc_u32 s14, 0, s17
	s_add_u32 s2, s2, s16
	s_mul_hi_u32 s11, s12, s13
	s_addc_u32 s2, s14, s15
	s_addc_u32 s11, s11, 0
	s_mul_i32 s13, s12, s13
	s_add_u32 s2, s2, s13
	s_addc_u32 s11, 0, s11
	v_add_co_u32_e32 v1, vcc, s2, v1
	s_cmp_lg_u64 vcc, 0
	s_addc_u32 s11, s12, s11
	s_ashr_i32 s12, s3, 31
	s_add_u32 s2, s10, s12
	s_mov_b32 s13, s12
	s_addc_u32 s3, s3, s12
	s_xor_b64 s[2:3], s[2:3], s[12:13]
	v_readfirstlane_b32 s16, v1
	s_mul_i32 s15, s2, s11
	s_mul_hi_u32 s17, s2, s16
	s_mul_hi_u32 s14, s2, s11
	s_add_u32 s15, s17, s15
	s_addc_u32 s14, 0, s14
	s_mul_hi_u32 s19, s3, s16
	s_mul_i32 s16, s3, s16
	s_add_u32 s15, s15, s16
	s_mul_hi_u32 s17, s3, s11
	s_addc_u32 s14, s14, s19
	s_addc_u32 s15, s17, 0
	s_mul_i32 s11, s3, s11
	s_add_u32 s11, s14, s11
	s_addc_u32 s14, 0, s15
	s_add_u32 s15, s11, 1
	s_addc_u32 s16, s14, 0
	s_add_u32 s17, s11, 2
	s_mul_i32 s20, s23, s14
	s_mul_hi_u32 s21, s23, s11
	s_addc_u32 s19, s14, 0
	s_add_i32 s21, s21, s20
	s_mul_i32 s20, s23, s11
	v_mov_b32_e32 v1, s20
	v_sub_co_u32_e32 v1, vcc, s2, v1
	s_cmp_lg_u64 vcc, 0
	s_subb_u32 s2, s3, s21
	v_subrev_co_u32_e32 v4, vcc, s23, v1
	s_cmp_lg_u64 vcc, 0
	s_subb_u32 s3, s2, 0
	v_readfirstlane_b32 s20, v4
	s_cmp_ge_u32 s20, s23
	s_cselect_b32 s20, -1, 0
	s_cmp_eq_u32 s3, 0
	s_cselect_b32 s3, s20, -1
	s_cmp_lg_u32 s3, 0
	s_cselect_b32 s3, s19, s16
	v_readfirstlane_b32 s16, v1
	s_cselect_b32 s15, s17, s15
	s_cmp_ge_u32 s16, s23
	s_cselect_b32 s16, -1, 0
	s_cmp_eq_u32 s2, 0
	s_cselect_b32 s2, s16, -1
	s_cmp_lg_u32 s2, 0
	s_cselect_b32 s3, s3, s14
	s_cselect_b32 s2, s15, s11
	s_xor_b64 s[2:3], s[2:3], s[12:13]
	s_sub_u32 s2, s2, s12
	s_subb_u32 s3, s3, s12
	s_cbranch_execnz .LBB12_5
.LBB12_4:
	v_cvt_f32_u32_e32 v1, s23
	s_sub_i32 s0, 0, s23
	s_mov_b32 s3, 0
	v_rcp_iflag_f32_e32 v1, v1
	v_mul_f32_e32 v1, 0x4f7ffffe, v1
	v_cvt_u32_f32_e32 v1, v1
	v_readfirstlane_b32 s1, v1
	s_mul_i32 s0, s0, s1
	s_mul_hi_u32 s0, s1, s0
	s_add_i32 s1, s1, s0
	s_mul_hi_u32 s0, s10, s1
	s_mul_i32 s2, s0, s23
	s_sub_i32 s2, s10, s2
	s_add_i32 s1, s0, 1
	s_sub_i32 s10, s2, s23
	s_cmp_ge_u32 s2, s23
	s_cselect_b32 s0, s1, s0
	s_cselect_b32 s2, s10, s2
	s_add_i32 s1, s0, 1
	s_cmp_ge_u32 s2, s23
	s_cselect_b32 s2, s1, s0
.LBB12_5:
	v_mov_b32_e32 v1, 0
	v_mov_b32_e32 v4, s6
	v_mad_u64_u32 v[14:15], s[0:1], s7, v4, v[0:1]
	s_add_u32 s0, s2, 1
	s_addc_u32 s1, s3, 0
	s_mul_hi_u32 s2, s18, s7
	s_mul_i32 s1, s22, s1
	s_mul_hi_u32 s3, s22, s0
	s_add_i32 s1, s3, s1
	s_mul_i32 s2, s2, s0
	s_add_i32 s1, s1, s2
	s_mul_i32 s0, s22, s0
	s_lshl_b64 s[10:11], s[0:1], 2
	v_cmp_gt_i64_e32 vcc, s[10:11], v[14:15]
	s_and_saveexec_b64 s[0:1], vcc
	s_cbranch_execz .LBB12_30
; %bb.6:
	s_mov_b32 s0, 0x5384540f
	v_mov_b32_e32 v4, v13
	v_add_co_u32_e32 v22, vcc, s0, v12
	s_mov_b32 s0, 0x646e171e
	v_add_co_u32_e32 v23, vcc, s0, v4
	s_mov_b32 s0, 0x1715609d
	;; [unrolled: 2-line block ×6, first 2 shown]
	v_alignbit_b32 v29, v3, v2, 2
	s_mov_b32 s24, 0xd2511f53
	v_add_co_u32_e32 v28, vcc, s0, v12
	v_mad_u64_u32 v[6:7], s[0:1], v29, s24, 0
	v_and_b32_e32 v18, 3, v2
	v_xor_b32_e32 v2, v7, v13
	v_xor_b32_e32 v2, v2, v15
	s_mov_b32 s25, 0xcd9e8d57
	v_mad_u64_u32 v[8:9], s[0:1], v2, s25, 0
	v_xor_b32_e32 v2, v28, v9
	v_mad_u64_u32 v[10:11], s[0:1], v14, s25, 0
	v_xor_b32_e32 v2, v2, v10
	;; [unrolled: 2-line block ×3, first 2 shown]
	v_lshrrev_b32_e32 v30, 2, v3
	v_xor_b32_e32 v2, v2, v30
	v_xor_b32_e32 v5, v27, v17
	v_mad_u64_u32 v[2:3], s[0:1], v2, s24, 0
	v_xor_b32_e32 v2, v5, v2
	v_mad_u64_u32 v[10:11], s[0:1], v2, s25, 0
	s_mov_b32 s0, 0xbb67ae85
	v_add_co_u32_e32 v31, vcc, s0, v4
	v_xor_b32_e32 v2, v31, v3
	v_xor_b32_e32 v2, v2, v6
	v_xor_b32_e32 v5, v26, v11
	v_mad_u64_u32 v[2:3], s[0:1], v2, s25, 0
	v_xor_b32_e32 v2, v5, v2
	v_mad_u64_u32 v[6:7], s[0:1], v2, s24, 0
	s_mov_b32 s0, 0x3c6ef372
	v_add_co_u32_e32 v32, vcc, s0, v12
	v_xor_b32_e32 v2, v32, v3
	;; [unrolled: 8-line block ×6, first 2 shown]
	v_add_co_u32_e32 v21, vcc, 0xdb3d7428, v4
	v_xor_b32_e32 v2, v2, v8
	v_xor_b32_e32 v5, v21, v41
	v_mad_u64_u32 v[2:3], s[0:1], v2, s24, 0
	v_xor_b32_e32 v2, v5, v2
	v_mad_u64_u32 v[42:43], s[0:1], v2, s25, 0
	s_mov_b32 s0, 0x1fd5c5a3
	v_add_co_u32_e32 v37, vcc, s0, v4
	v_xor_b32_e32 v2, v37, v3
	v_xor_b32_e32 v2, v2, v16
	v_mad_u64_u32 v[2:3], s[0:1], v2, s25, 0
	s_mov_b32 s0, 0xf1bbcdc8
	v_add_u32_e32 v19, 0x8ff34781, v12
	v_xor_b32_e32 v2, v43, v2
	v_add_co_u32_e32 v38, vcc, s0, v12
	s_load_dwordx4 s[12:15], s[4:5], 0x38
	s_load_dwordx2 s[16:17], s[4:5], 0x30
	v_xor_b32_e32 v6, v19, v2
	v_xor_b32_e32 v2, v38, v3
	;; [unrolled: 1-line block ×3, first 2 shown]
	v_mad_u64_u32 v[2:3], s[0:1], v2, s24, 0
	s_mul_i32 s0, s6, s7
	v_mov_b32_e32 v9, v2
	v_add_u32_e32 v2, s0, v0
	s_waitcnt lgkmcnt(0)
	s_mul_i32 s0, s18, s12
	s_mul_i32 s0, s0, s7
	s_lshl_b32 s26, s0, 2
	s_add_i32 s0, s6, s18
	s_mul_i32 s0, s0, s7
	s_mov_b32 s15, 0
	v_add_u32_e32 v20, 0x96a522ad, v13
	v_xor_b32_e32 v3, v3, v40
	v_add_u32_e32 v0, s0, v0
	v_xor_b32_e32 v8, v20, v3
	v_mov_b32_e32 v7, v42
	v_mul_lo_u32 v39, s12, v2
	v_mul_lo_u32 v40, s12, v0
	s_mov_b64 s[6:7], 0
	s_mov_b32 s12, 0x3f7ffffe
	s_brev_b32 s27, 44
	s_brev_b32 s28, 18
	s_mov_b32 s29, 0xfe5163ab
	s_mov_b32 s30, 0x3c439041
	s_mov_b32 s31, 0xdb629599
	s_mov_b32 s33, 0xf534ddc0
	s_mov_b32 s34, 0xfc2757d1
	s_mov_b32 s35, 0x4e441529
	s_mov_b32 s36, 0xa2f9836e
	s_mov_b32 s37, 0x3fc90fda
	s_mov_b32 s38, 0x3f22f983
	s_mov_b32 s39, 0xbfc90fda
	v_mov_b32_e32 v41, 0x3f93f425
	s_movk_i32 s40, 0x1f8
	s_movk_i32 s41, 0x7fff
	v_mov_b32_e32 v42, 0x3f7ffffe
	v_bfrev_b32_e32 v43, 44
	v_not_b32_e32 v44, 63
	v_not_b32_e32 v45, 31
	v_mov_b32_e32 v46, 0x7fc00000
	v_mov_b32_e32 v47, 0x7fc0
	s_mov_b32 s42, s15
	v_mov_b32_e32 v48, v14
	v_mov_b32_e32 v49, v15
	s_branch .LBB12_9
.LBB12_7:                               ;   in Loop: Header=BB12_9 Depth=1
	s_or_b64 exec, exec, s[0:1]
	v_mul_f32_e32 v11, v0, v0
	v_mov_b32_e32 v17, 0xbf039337
	v_fmac_f32_e32 v17, 0x3c971480, v11
	v_fma_f32 v17, v11, v17, v41
	v_add_u32_e32 v8, s42, v40
	v_rcp_f32_e32 v17, v17
	v_ashrrev_i32_e32 v9, 31, v8
	v_mov_b32_e32 v10, s17
	v_add_co_u32_e32 v8, vcc, s16, v8
	v_addc_co_u32_e32 v9, vcc, v10, v9, vcc
	v_mov_b32_e32 v10, 0x3ec54587
	v_fmac_f32_e32 v10, 0xbc8cedd3, v11
	v_mul_f32_e32 v10, v10, v17
	v_mul_f32_e32 v10, v11, v10
	v_fma_f32 v11, v10, v0, v0
	v_rcp_f32_e32 v17, v11
	v_sub_f32_e32 v50, v11, v0
	v_fma_f32 v0, v10, v0, -v50
	v_and_b32_e32 v7, 1, v7
	v_fma_f32 v10, v11, -v17, 1.0
	v_fma_f32 v0, v0, -v17, v10
	v_fma_f32 v0, v0, -v17, -v17
	v_cmp_eq_u32_e32 vcc, 0, v7
	v_cndmask_b32_e32 v0, v0, v11, vcc
	v_xor_b32_e32 v6, v6, v5
	v_xor_b32_e32 v0, v6, v0
	v_cmp_class_f32_e64 vcc, v5, s40
	v_cndmask_b32_e32 v0, v46, v0, vcc
	v_mov_b32_e32 v5, s13
	v_fma_f32 v0, s14, v0, v5
	v_bfe_u32 v5, v0, 16, 1
	v_add3_u32 v5, v0, v5, s41
	v_lshrrev_b32_e32 v5, 16, v5
	v_cmp_o_f32_e32 vcc, v0, v0
	v_cndmask_b32_e32 v0, v47, v5, vcc
	global_store_short v[8:9], v0, off
.LBB12_8:                               ;   in Loop: Header=BB12_9 Depth=1
	s_or_b64 exec, exec, s[18:19]
	v_add_co_u32_e32 v14, vcc, s23, v14
	v_mov_b32_e32 v5, v16
	v_addc_co_u32_e32 v15, vcc, 0, v15, vcc
	s_add_i32 s42, s42, s26
	v_cmp_le_i64_e32 vcc, s[10:11], v[14:15]
	v_pk_mov_b32 v[8:9], v[4:5], v[4:5] op_sel:[0,1]
	s_or_b64 s[6:7], vcc, s[6:7]
	v_pk_mov_b32 v[6:7], v[2:3], v[2:3] op_sel:[0,1]
	s_barrier
	s_andn2_b64 exec, exec, s[6:7]
	s_cbranch_execz .LBB12_30
.LBB12_9:                               ; =>This Inner Loop Header: Depth=1
	v_add_co_u32_e32 v29, vcc, 1, v29
	v_cndmask_b32_e64 v0, 0, 1, vcc
	v_addc_co_u32_e32 v30, vcc, 0, v30, vcc
	v_cmp_eq_u32_e32 vcc, 0, v30
	v_cndmask_b32_e32 v0, 0, v0, vcc
	v_add_u32_e32 v48, v0, v48
	v_cmp_eq_u32_e32 vcc, 0, v48
	v_cndmask_b32_e32 v0, 0, v0, vcc
	v_mad_u64_u32 v[2:3], s[0:1], v29, s24, 0
	v_mad_u64_u32 v[4:5], s[0:1], v48, s25, 0
	v_add_u32_e32 v49, v0, v49
	v_xor_b32_e32 v0, v5, v12
	v_xor_b32_e32 v3, v3, v13
	v_xor_b32_e32 v0, v30, v0
	v_xor_b32_e32 v3, v49, v3
	v_mad_u64_u32 v[10:11], s[0:1], v0, s24, 0
	v_mad_u64_u32 v[16:17], s[0:1], v3, s25, 0
	v_xor_b32_e32 v0, v28, v17
	v_xor_b32_e32 v3, v31, v11
	v_xor_b32_e32 v0, v0, v4
	v_xor_b32_e32 v4, v3, v2
	v_mad_u64_u32 v[2:3], s[0:1], v0, s24, 0
	v_mad_u64_u32 v[4:5], s[0:1], v4, s25, 0
	;; [unrolled: 6-line block ×9, first 2 shown]
	v_xor_b32_e32 v0, v11, v2
	v_xor_b32_e32 v2, v19, v0
	;; [unrolled: 1-line block ×4, first 2 shown]
	v_mov_b32_e32 v3, v10
	v_mov_b32_e32 v4, v11
	v_cmp_lt_i32_e32 vcc, 1, v18
	s_and_saveexec_b64 s[0:1], vcc
	s_xor_b64 s[0:1], exec, s[0:1]
	s_cbranch_execnz .LBB12_12
; %bb.10:                               ;   in Loop: Header=BB12_9 Depth=1
	s_andn2_saveexec_b64 s[0:1], s[0:1]
	s_cbranch_execnz .LBB12_17
.LBB12_11:                              ;   in Loop: Header=BB12_9 Depth=1
	s_or_b64 exec, exec, s[0:1]
	v_cmp_gt_i64_e32 vcc, s[8:9], v[14:15]
	s_and_saveexec_b64 s[18:19], vcc
	s_cbranch_execnz .LBB12_20
	s_branch .LBB12_25
.LBB12_12:                              ;   in Loop: Header=BB12_9 Depth=1
	v_cmp_lt_i32_e32 vcc, 2, v18
	s_and_saveexec_b64 s[2:3], vcc
	s_xor_b64 s[2:3], exec, s[2:3]
; %bb.13:                               ;   in Loop: Header=BB12_9 Depth=1
	v_mov_b32_e32 v8, v9
	v_mov_b32_e32 v9, v2
	v_pk_mov_b32 v[6:7], v[8:9], v[8:9] op_sel:[0,1]
	v_pk_mov_b32 v[8:9], v[10:11], v[10:11] op_sel:[0,1]
                                        ; implicit-def: $vgpr10_vgpr11
; %bb.14:                               ;   in Loop: Header=BB12_9 Depth=1
	s_andn2_saveexec_b64 s[2:3], s[2:3]
; %bb.15:                               ;   in Loop: Header=BB12_9 Depth=1
	v_mov_b32_e32 v6, v8
	v_mov_b32_e32 v7, v9
	;; [unrolled: 1-line block ×4, first 2 shown]
; %bb.16:                               ;   in Loop: Header=BB12_9 Depth=1
	s_or_b64 exec, exec, s[2:3]
	s_andn2_saveexec_b64 s[0:1], s[0:1]
	s_cbranch_execz .LBB12_11
.LBB12_17:                              ;   in Loop: Header=BB12_9 Depth=1
	v_cmp_eq_u32_e32 vcc, 1, v18
	s_and_saveexec_b64 s[2:3], vcc
; %bb.18:                               ;   in Loop: Header=BB12_9 Depth=1
	v_mov_b32_e32 v6, v7
	v_mov_b32_e32 v7, v8
	;; [unrolled: 1-line block ×4, first 2 shown]
; %bb.19:                               ;   in Loop: Header=BB12_9 Depth=1
	s_or_b64 exec, exec, s[2:3]
	s_or_b64 exec, exec, s[0:1]
	v_cmp_gt_i64_e32 vcc, s[8:9], v[14:15]
	s_and_saveexec_b64 s[18:19], vcc
	s_cbranch_execz .LBB12_25
.LBB12_20:                              ;   in Loop: Header=BB12_9 Depth=1
	v_lshrrev_b32_e32 v0, 11, v7
	v_cvt_f64_u32_e32 v[10:11], v0
	v_ldexp_f64 v[10:11], v[10:11], 32
	v_cvt_f64_u32_e32 v[6:7], v6
	v_add_f64 v[6:7], v[10:11], v[6:7]
	v_mov_b32_e32 v10, 0
	v_mov_b32_e32 v11, 0x3ca00000
	v_fmac_f64_e32 v[10:11], 0x3ca00000, v[6:7]
	v_cvt_f32_f64_e32 v0, v[10:11]
	v_cmp_nlt_f32_e32 vcc, s12, v0
	v_cndmask_b32_e32 v0, v42, v0, vcc
	v_cmp_ngt_f32_e32 vcc, s27, v0
	v_cndmask_b32_e32 v0, v43, v0, vcc
	v_add_f32_e32 v0, -0.5, v0
	v_mul_f32_e32 v5, 0x40490fdb, v0
	v_and_b32_e32 v6, 0x7fffffff, v5
	v_cmp_nlt_f32_e64 s[0:1], |v5|, s28
                                        ; implicit-def: $vgpr7
                                        ; implicit-def: $vgpr0
	s_and_saveexec_b64 s[2:3], s[0:1]
	s_xor_b64 s[20:21], exec, s[2:3]
	s_cbranch_execz .LBB12_22
; %bb.21:                               ;   in Loop: Header=BB12_9 Depth=1
	v_lshrrev_b32_e32 v0, 23, v6
	v_add_u32_e32 v0, 0xffffff88, v0
	v_cmp_lt_u32_e32 vcc, 63, v0
	v_cndmask_b32_e32 v7, 0, v44, vcc
	v_add_u32_e32 v0, v7, v0
	v_cmp_lt_u32_e64 s[0:1], 31, v0
	v_cndmask_b32_e64 v7, 0, v45, s[0:1]
	v_add_u32_e32 v0, v7, v0
	v_cmp_lt_u32_e64 s[2:3], 31, v0
	v_cndmask_b32_e64 v7, 0, v45, s[2:3]
	v_add_u32_e32 v7, v7, v0
	v_and_b32_e32 v0, 0x7fffff, v6
	v_or_b32_e32 v17, 0x800000, v0
	v_mad_u64_u32 v[10:11], s[4:5], v17, s29, 0
	v_mov_b32_e32 v0, v11
	v_mad_u64_u32 v[50:51], s[4:5], v17, s30, v[0:1]
	v_mov_b32_e32 v0, v51
	;; [unrolled: 2-line block ×6, first 2 shown]
	v_mad_u64_u32 v[60:61], s[4:5], v17, s36, v[0:1]
	v_cndmask_b32_e32 v11, v58, v54, vcc
	v_cndmask_b32_e32 v0, v60, v56, vcc
	;; [unrolled: 1-line block ×3, first 2 shown]
	v_cndmask_b32_e64 v17, v0, v11, s[0:1]
	v_cndmask_b32_e64 v0, v51, v0, s[0:1]
	v_cndmask_b32_e32 v51, v56, v52, vcc
	v_cndmask_b32_e64 v11, v11, v51, s[0:1]
	v_cndmask_b32_e64 v0, v0, v17, s[2:3]
	;; [unrolled: 1-line block ×3, first 2 shown]
	v_sub_u32_e32 v53, 32, v7
	v_alignbit_b32 v55, v0, v17, v53
	v_cmp_eq_u32_e64 s[4:5], 0, v7
	v_cndmask_b32_e64 v7, v55, v0, s[4:5]
	v_cndmask_b32_e32 v0, v54, v50, vcc
	v_cndmask_b32_e64 v50, v51, v0, s[0:1]
	v_cndmask_b32_e64 v11, v11, v50, s[2:3]
	v_cndmask_b32_e32 v10, v52, v10, vcc
	v_alignbit_b32 v51, v17, v11, v53
	v_cndmask_b32_e64 v0, v0, v10, s[0:1]
	v_cndmask_b32_e64 v17, v51, v17, s[4:5]
	v_bfe_u32 v55, v7, 29, 1
	v_cndmask_b32_e64 v0, v50, v0, s[2:3]
	v_alignbit_b32 v51, v7, v17, 30
	v_sub_u32_e32 v56, 0, v55
	v_alignbit_b32 v10, v11, v0, v53
	v_xor_b32_e32 v57, v51, v56
	v_cndmask_b32_e64 v10, v10, v11, s[4:5]
	v_alignbit_b32 v11, v17, v10, 30
	v_ffbh_u32_e32 v17, v57
	v_add_u32_e32 v17, 1, v17
	v_cmp_ne_u32_e32 vcc, v51, v56
	v_cndmask_b32_e32 v17, 33, v17, vcc
	v_alignbit_b32 v0, v10, v0, 30
	v_xor_b32_e32 v11, v11, v56
	v_sub_u32_e32 v50, 32, v17
	v_xor_b32_e32 v0, v0, v56
	v_alignbit_b32 v51, v57, v11, v50
	v_alignbit_b32 v0, v11, v0, v50
	v_alignbit_b32 v10, v51, v0, 9
	v_ffbh_u32_e32 v11, v10
	v_min_u32_e32 v11, 32, v11
	v_lshrrev_b32_e32 v54, 29, v7
	v_sub_u32_e32 v50, 31, v11
	v_alignbit_b32 v0, v10, v0, v50
	v_lshlrev_b32_e32 v10, 31, v54
	v_or_b32_e32 v50, 0x33800000, v10
	v_add_lshl_u32 v11, v11, v17, 23
	v_lshrrev_b32_e32 v0, 9, v0
	v_sub_u32_e32 v11, v50, v11
	v_or_b32_e32 v0, v11, v0
	v_alignbit_b32 v11, v17, v51, 9
	v_or_b32_e32 v10, v11, v10
	v_xor_b32_e32 v10, 1.0, v10
	v_mul_f32_e32 v11, 0x3fc90fda, v10
	v_fma_f32 v17, v10, s37, -v11
	v_fmac_f32_e32 v17, 0x33a22168, v10
	v_fmac_f32_e32 v17, 0x3fc90fda, v0
	v_lshrrev_b32_e32 v7, 30, v7
	v_add_f32_e32 v0, v11, v17
	v_add_u32_e32 v7, v55, v7
.LBB12_22:                              ;   in Loop: Header=BB12_9 Depth=1
	s_andn2_saveexec_b64 s[0:1], s[20:21]
; %bb.23:                               ;   in Loop: Header=BB12_9 Depth=1
	v_mul_f32_e64 v0, |v5|, s38
	v_rndne_f32_e32 v10, v0
	v_cvt_i32_f32_e32 v7, v10
	v_fma_f32 v0, v10, s39, |v5|
	v_fmac_f32_e32 v0, 0xb3a22168, v10
	v_fmac_f32_e32 v0, 0xa7c234c4, v10
; %bb.24:                               ;   in Loop: Header=BB12_9 Depth=1
	s_or_b64 exec, exec, s[0:1]
	v_mul_f32_e32 v50, v0, v0
	v_mov_b32_e32 v51, 0xbf039337
	v_fmac_f32_e32 v51, 0x3c971480, v50
	v_fma_f32 v51, v50, v51, v41
	v_add_u32_e32 v10, s42, v39
	v_rcp_f32_e32 v51, v51
	v_ashrrev_i32_e32 v11, 31, v10
	v_mov_b32_e32 v17, s17
	v_add_co_u32_e32 v10, vcc, s16, v10
	v_addc_co_u32_e32 v11, vcc, v17, v11, vcc
	v_mov_b32_e32 v17, 0x3ec54587
	v_fmac_f32_e32 v17, 0xbc8cedd3, v50
	v_mul_f32_e32 v17, v17, v51
	v_mul_f32_e32 v17, v50, v17
	v_fma_f32 v50, v17, v0, v0
	v_rcp_f32_e32 v51, v50
	v_sub_f32_e32 v52, v50, v0
	v_fma_f32 v0, v17, v0, -v52
	v_and_b32_e32 v7, 1, v7
	v_fma_f32 v17, v50, -v51, 1.0
	v_fma_f32 v0, v0, -v51, v17
	v_fma_f32 v0, v0, -v51, -v51
	v_cmp_eq_u32_e32 vcc, 0, v7
	v_cndmask_b32_e32 v0, v0, v50, vcc
	v_xor_b32_e32 v6, v6, v5
	v_xor_b32_e32 v0, v6, v0
	v_cmp_class_f32_e64 vcc, v5, s40
	v_cndmask_b32_e32 v0, v46, v0, vcc
	v_mov_b32_e32 v5, s13
	v_fma_f32 v0, s14, v0, v5
	v_bfe_u32 v5, v0, 16, 1
	v_add3_u32 v5, v0, v5, s41
	v_lshrrev_b32_e32 v5, 16, v5
	v_cmp_o_f32_e32 vcc, v0, v0
	v_cndmask_b32_e32 v0, v47, v5, vcc
	global_store_short v[10:11], v0, off
.LBB12_25:                              ;   in Loop: Header=BB12_9 Depth=1
	s_or_b64 exec, exec, s[18:19]
	v_mov_b32_e32 v0, s15
	v_add_co_u32_e32 v6, vcc, s22, v14
	v_addc_co_u32_e32 v7, vcc, v0, v15, vcc
	v_cmp_gt_i64_e32 vcc, s[8:9], v[6:7]
	s_and_saveexec_b64 s[18:19], vcc
	s_cbranch_execz .LBB12_8
; %bb.26:                               ;   in Loop: Header=BB12_9 Depth=1
	v_lshrrev_b32_e32 v0, 11, v9
	v_cvt_f64_u32_e32 v[6:7], v0
	v_ldexp_f64 v[6:7], v[6:7], 32
	v_cvt_f64_u32_e32 v[8:9], v8
	v_add_f64 v[6:7], v[6:7], v[8:9]
	v_mov_b32_e32 v8, 0
	v_mov_b32_e32 v9, 0x3ca00000
	v_fmac_f64_e32 v[8:9], 0x3ca00000, v[6:7]
	v_cvt_f32_f64_e32 v0, v[8:9]
	v_cmp_nlt_f32_e32 vcc, s12, v0
	v_cndmask_b32_e32 v0, v42, v0, vcc
	v_cmp_ngt_f32_e32 vcc, s27, v0
	v_cndmask_b32_e32 v0, v43, v0, vcc
	v_add_f32_e32 v0, -0.5, v0
	v_mul_f32_e32 v5, 0x40490fdb, v0
	v_and_b32_e32 v6, 0x7fffffff, v5
	v_cmp_nlt_f32_e64 s[0:1], |v5|, s28
                                        ; implicit-def: $vgpr7
                                        ; implicit-def: $vgpr0
	s_and_saveexec_b64 s[2:3], s[0:1]
	s_xor_b64 s[20:21], exec, s[2:3]
	s_cbranch_execz .LBB12_28
; %bb.27:                               ;   in Loop: Header=BB12_9 Depth=1
	v_lshrrev_b32_e32 v0, 23, v6
	v_add_u32_e32 v0, 0xffffff88, v0
	v_cmp_lt_u32_e32 vcc, 63, v0
	v_cndmask_b32_e32 v7, 0, v44, vcc
	v_add_u32_e32 v0, v7, v0
	v_cmp_lt_u32_e64 s[0:1], 31, v0
	v_cndmask_b32_e64 v7, 0, v45, s[0:1]
	v_add_u32_e32 v0, v7, v0
	v_cmp_lt_u32_e64 s[2:3], 31, v0
	v_cndmask_b32_e64 v7, 0, v45, s[2:3]
	v_add_u32_e32 v7, v7, v0
	v_and_b32_e32 v0, 0x7fffff, v6
	v_or_b32_e32 v17, 0x800000, v0
	v_mad_u64_u32 v[8:9], s[4:5], v17, s29, 0
	v_mov_b32_e32 v0, v9
	v_mad_u64_u32 v[10:11], s[4:5], v17, s30, v[0:1]
	v_mov_b32_e32 v0, v11
	;; [unrolled: 2-line block ×6, first 2 shown]
	v_mad_u64_u32 v[58:59], s[4:5], v17, s36, v[0:1]
	v_cndmask_b32_e32 v9, v56, v52, vcc
	v_cndmask_b32_e32 v0, v58, v54, vcc
	;; [unrolled: 1-line block ×3, first 2 shown]
	v_cndmask_b32_e64 v11, v0, v9, s[0:1]
	v_cndmask_b32_e64 v0, v17, v0, s[0:1]
	v_cndmask_b32_e32 v17, v54, v50, vcc
	v_cndmask_b32_e64 v9, v9, v17, s[0:1]
	v_cndmask_b32_e64 v0, v0, v11, s[2:3]
	;; [unrolled: 1-line block ×3, first 2 shown]
	v_sub_u32_e32 v51, 32, v7
	v_alignbit_b32 v53, v0, v11, v51
	v_cmp_eq_u32_e64 s[4:5], 0, v7
	v_cndmask_b32_e64 v7, v53, v0, s[4:5]
	v_cndmask_b32_e32 v0, v52, v10, vcc
	v_cndmask_b32_e64 v10, v17, v0, s[0:1]
	v_cndmask_b32_e64 v9, v9, v10, s[2:3]
	v_alignbit_b32 v17, v11, v9, v51
	v_cndmask_b32_e64 v11, v17, v11, s[4:5]
	v_bfe_u32 v53, v7, 29, 1
	v_cndmask_b32_e32 v8, v50, v8, vcc
	v_alignbit_b32 v17, v7, v11, 30
	v_sub_u32_e32 v54, 0, v53
	v_cndmask_b32_e64 v0, v0, v8, s[0:1]
	v_xor_b32_e32 v55, v17, v54
	v_cndmask_b32_e64 v0, v10, v0, s[2:3]
	v_alignbit_b32 v8, v9, v0, v51
	v_ffbh_u32_e32 v10, v55
	v_cndmask_b32_e64 v8, v8, v9, s[4:5]
	v_add_u32_e32 v10, 1, v10
	v_cmp_ne_u32_e32 vcc, v17, v54
	v_alignbit_b32 v9, v11, v8, 30
	v_cndmask_b32_e32 v10, 33, v10, vcc
	v_alignbit_b32 v0, v8, v0, 30
	v_xor_b32_e32 v9, v9, v54
	v_sub_u32_e32 v11, 32, v10
	v_xor_b32_e32 v0, v0, v54
	v_alignbit_b32 v17, v55, v9, v11
	v_alignbit_b32 v0, v9, v0, v11
	;; [unrolled: 1-line block ×3, first 2 shown]
	v_ffbh_u32_e32 v9, v8
	v_min_u32_e32 v9, 32, v9
	v_lshrrev_b32_e32 v52, 29, v7
	v_sub_u32_e32 v11, 31, v9
	v_alignbit_b32 v0, v8, v0, v11
	v_lshlrev_b32_e32 v8, 31, v52
	v_or_b32_e32 v11, 0x33800000, v8
	v_add_lshl_u32 v9, v9, v10, 23
	v_lshrrev_b32_e32 v0, 9, v0
	v_sub_u32_e32 v9, v11, v9
	v_or_b32_e32 v0, v9, v0
	v_alignbit_b32 v9, v10, v17, 9
	v_or_b32_e32 v8, v9, v8
	v_xor_b32_e32 v8, 1.0, v8
	v_mul_f32_e32 v9, 0x3fc90fda, v8
	v_fma_f32 v10, v8, s37, -v9
	v_fmac_f32_e32 v10, 0x33a22168, v8
	v_fmac_f32_e32 v10, 0x3fc90fda, v0
	v_lshrrev_b32_e32 v7, 30, v7
	v_add_f32_e32 v0, v9, v10
	v_add_u32_e32 v7, v53, v7
.LBB12_28:                              ;   in Loop: Header=BB12_9 Depth=1
	s_andn2_saveexec_b64 s[0:1], s[20:21]
	s_cbranch_execz .LBB12_7
; %bb.29:                               ;   in Loop: Header=BB12_9 Depth=1
	v_mul_f32_e64 v0, |v5|, s38
	v_rndne_f32_e32 v8, v0
	v_cvt_i32_f32_e32 v7, v8
	v_fma_f32 v0, v8, s39, |v5|
	v_fmac_f32_e32 v0, 0xb3a22168, v8
	v_fmac_f32_e32 v0, 0xa7c234c4, v8
	s_branch .LBB12_7
.LBB12_30:
	s_endpgm
.LBB12_31:
                                        ; implicit-def: $sgpr2_sgpr3
	s_andn2_b64 vcc, exec, s[0:1]
	s_cbranch_vccz .LBB12_4
	s_branch .LBB12_5
	.section	.rodata,"a",@progbits
	.p2align	6, 0x0
	.amdhsa_kernel _ZN2at6native12_GLOBAL__N_143distribution_elementwise_grid_stride_kernelIfLi4EZNS0_9templates4cuda21uniform_and_transformIN3c108BFloat16EfPNS_17CUDAGeneratorImplEZZZNS4_13cauchy_kernelIS9_EEvRNS_18TensorIteratorBaseEddT_ENKUlvE_clEvENKUlvE2_clEvEUlfE_EEvSC_T1_T2_EUlP25hiprandStatePhilox4_32_10E_ZNS1_27distribution_nullary_kernelIS7_f15HIP_vector_typeIdLj2EES9_SL_SG_EEvSC_SI_RKT3_T4_EUlifE_EEvlNS_15PhiloxCudaStateESH_SI_
		.amdhsa_group_segment_fixed_size 0
		.amdhsa_private_segment_fixed_size 0
		.amdhsa_kernarg_size 328
		.amdhsa_user_sgpr_count 6
		.amdhsa_user_sgpr_private_segment_buffer 1
		.amdhsa_user_sgpr_dispatch_ptr 0
		.amdhsa_user_sgpr_queue_ptr 0
		.amdhsa_user_sgpr_kernarg_segment_ptr 1
		.amdhsa_user_sgpr_dispatch_id 0
		.amdhsa_user_sgpr_flat_scratch_init 0
		.amdhsa_user_sgpr_kernarg_preload_length 0
		.amdhsa_user_sgpr_kernarg_preload_offset 0
		.amdhsa_user_sgpr_private_segment_size 0
		.amdhsa_uses_dynamic_stack 0
		.amdhsa_system_sgpr_private_segment_wavefront_offset 0
		.amdhsa_system_sgpr_workgroup_id_x 1
		.amdhsa_system_sgpr_workgroup_id_y 0
		.amdhsa_system_sgpr_workgroup_id_z 0
		.amdhsa_system_sgpr_workgroup_info 0
		.amdhsa_system_vgpr_workitem_id 0
		.amdhsa_next_free_vgpr 62
		.amdhsa_next_free_sgpr 43
		.amdhsa_accum_offset 64
		.amdhsa_reserve_vcc 1
		.amdhsa_reserve_flat_scratch 0
		.amdhsa_float_round_mode_32 0
		.amdhsa_float_round_mode_16_64 0
		.amdhsa_float_denorm_mode_32 3
		.amdhsa_float_denorm_mode_16_64 3
		.amdhsa_dx10_clamp 1
		.amdhsa_ieee_mode 1
		.amdhsa_fp16_overflow 0
		.amdhsa_tg_split 0
		.amdhsa_exception_fp_ieee_invalid_op 0
		.amdhsa_exception_fp_denorm_src 0
		.amdhsa_exception_fp_ieee_div_zero 0
		.amdhsa_exception_fp_ieee_overflow 0
		.amdhsa_exception_fp_ieee_underflow 0
		.amdhsa_exception_fp_ieee_inexact 0
		.amdhsa_exception_int_div_zero 0
	.end_amdhsa_kernel
	.section	.text._ZN2at6native12_GLOBAL__N_143distribution_elementwise_grid_stride_kernelIfLi4EZNS0_9templates4cuda21uniform_and_transformIN3c108BFloat16EfPNS_17CUDAGeneratorImplEZZZNS4_13cauchy_kernelIS9_EEvRNS_18TensorIteratorBaseEddT_ENKUlvE_clEvENKUlvE2_clEvEUlfE_EEvSC_T1_T2_EUlP25hiprandStatePhilox4_32_10E_ZNS1_27distribution_nullary_kernelIS7_f15HIP_vector_typeIdLj2EES9_SL_SG_EEvSC_SI_RKT3_T4_EUlifE_EEvlNS_15PhiloxCudaStateESH_SI_,"axG",@progbits,_ZN2at6native12_GLOBAL__N_143distribution_elementwise_grid_stride_kernelIfLi4EZNS0_9templates4cuda21uniform_and_transformIN3c108BFloat16EfPNS_17CUDAGeneratorImplEZZZNS4_13cauchy_kernelIS9_EEvRNS_18TensorIteratorBaseEddT_ENKUlvE_clEvENKUlvE2_clEvEUlfE_EEvSC_T1_T2_EUlP25hiprandStatePhilox4_32_10E_ZNS1_27distribution_nullary_kernelIS7_f15HIP_vector_typeIdLj2EES9_SL_SG_EEvSC_SI_RKT3_T4_EUlifE_EEvlNS_15PhiloxCudaStateESH_SI_,comdat
.Lfunc_end12:
	.size	_ZN2at6native12_GLOBAL__N_143distribution_elementwise_grid_stride_kernelIfLi4EZNS0_9templates4cuda21uniform_and_transformIN3c108BFloat16EfPNS_17CUDAGeneratorImplEZZZNS4_13cauchy_kernelIS9_EEvRNS_18TensorIteratorBaseEddT_ENKUlvE_clEvENKUlvE2_clEvEUlfE_EEvSC_T1_T2_EUlP25hiprandStatePhilox4_32_10E_ZNS1_27distribution_nullary_kernelIS7_f15HIP_vector_typeIdLj2EES9_SL_SG_EEvSC_SI_RKT3_T4_EUlifE_EEvlNS_15PhiloxCudaStateESH_SI_, .Lfunc_end12-_ZN2at6native12_GLOBAL__N_143distribution_elementwise_grid_stride_kernelIfLi4EZNS0_9templates4cuda21uniform_and_transformIN3c108BFloat16EfPNS_17CUDAGeneratorImplEZZZNS4_13cauchy_kernelIS9_EEvRNS_18TensorIteratorBaseEddT_ENKUlvE_clEvENKUlvE2_clEvEUlfE_EEvSC_T1_T2_EUlP25hiprandStatePhilox4_32_10E_ZNS1_27distribution_nullary_kernelIS7_f15HIP_vector_typeIdLj2EES9_SL_SG_EEvSC_SI_RKT3_T4_EUlifE_EEvlNS_15PhiloxCudaStateESH_SI_
                                        ; -- End function
	.section	.AMDGPU.csdata,"",@progbits
; Kernel info:
; codeLenInByte = 4024
; NumSgprs: 47
; NumVgprs: 62
; NumAgprs: 0
; TotalNumVgprs: 62
; ScratchSize: 0
; MemoryBound: 0
; FloatMode: 240
; IeeeMode: 1
; LDSByteSize: 0 bytes/workgroup (compile time only)
; SGPRBlocks: 5
; VGPRBlocks: 7
; NumSGPRsForWavesPerEU: 47
; NumVGPRsForWavesPerEU: 62
; AccumOffset: 64
; Occupancy: 8
; WaveLimiterHint : 0
; COMPUTE_PGM_RSRC2:SCRATCH_EN: 0
; COMPUTE_PGM_RSRC2:USER_SGPR: 6
; COMPUTE_PGM_RSRC2:TRAP_HANDLER: 0
; COMPUTE_PGM_RSRC2:TGID_X_EN: 1
; COMPUTE_PGM_RSRC2:TGID_Y_EN: 0
; COMPUTE_PGM_RSRC2:TGID_Z_EN: 0
; COMPUTE_PGM_RSRC2:TIDIG_COMP_CNT: 0
; COMPUTE_PGM_RSRC3_GFX90A:ACCUM_OFFSET: 15
; COMPUTE_PGM_RSRC3_GFX90A:TG_SPLIT: 0
	.section	.text._ZN2at6native12_GLOBAL__N_143distribution_elementwise_grid_stride_kernelIfLi4EZNS0_9templates4cuda21uniform_and_transformIN3c108BFloat16EfPNS_17CUDAGeneratorImplEZZZNS4_13cauchy_kernelIS9_EEvRNS_18TensorIteratorBaseEddT_ENKUlvE_clEvENKUlvE2_clEvEUlfE_EEvSC_T1_T2_EUlP25hiprandStatePhilox4_32_10E_ZNS1_27distribution_nullary_kernelIS7_f15HIP_vector_typeIdLj2EES9_SL_SG_EEvSC_SI_RKT3_T4_EUlifE0_EEvlNS_15PhiloxCudaStateESH_SI_,"axG",@progbits,_ZN2at6native12_GLOBAL__N_143distribution_elementwise_grid_stride_kernelIfLi4EZNS0_9templates4cuda21uniform_and_transformIN3c108BFloat16EfPNS_17CUDAGeneratorImplEZZZNS4_13cauchy_kernelIS9_EEvRNS_18TensorIteratorBaseEddT_ENKUlvE_clEvENKUlvE2_clEvEUlfE_EEvSC_T1_T2_EUlP25hiprandStatePhilox4_32_10E_ZNS1_27distribution_nullary_kernelIS7_f15HIP_vector_typeIdLj2EES9_SL_SG_EEvSC_SI_RKT3_T4_EUlifE0_EEvlNS_15PhiloxCudaStateESH_SI_,comdat
	.globl	_ZN2at6native12_GLOBAL__N_143distribution_elementwise_grid_stride_kernelIfLi4EZNS0_9templates4cuda21uniform_and_transformIN3c108BFloat16EfPNS_17CUDAGeneratorImplEZZZNS4_13cauchy_kernelIS9_EEvRNS_18TensorIteratorBaseEddT_ENKUlvE_clEvENKUlvE2_clEvEUlfE_EEvSC_T1_T2_EUlP25hiprandStatePhilox4_32_10E_ZNS1_27distribution_nullary_kernelIS7_f15HIP_vector_typeIdLj2EES9_SL_SG_EEvSC_SI_RKT3_T4_EUlifE0_EEvlNS_15PhiloxCudaStateESH_SI_ ; -- Begin function _ZN2at6native12_GLOBAL__N_143distribution_elementwise_grid_stride_kernelIfLi4EZNS0_9templates4cuda21uniform_and_transformIN3c108BFloat16EfPNS_17CUDAGeneratorImplEZZZNS4_13cauchy_kernelIS9_EEvRNS_18TensorIteratorBaseEddT_ENKUlvE_clEvENKUlvE2_clEvEUlfE_EEvSC_T1_T2_EUlP25hiprandStatePhilox4_32_10E_ZNS1_27distribution_nullary_kernelIS7_f15HIP_vector_typeIdLj2EES9_SL_SG_EEvSC_SI_RKT3_T4_EUlifE0_EEvlNS_15PhiloxCudaStateESH_SI_
	.p2align	8
	.type	_ZN2at6native12_GLOBAL__N_143distribution_elementwise_grid_stride_kernelIfLi4EZNS0_9templates4cuda21uniform_and_transformIN3c108BFloat16EfPNS_17CUDAGeneratorImplEZZZNS4_13cauchy_kernelIS9_EEvRNS_18TensorIteratorBaseEddT_ENKUlvE_clEvENKUlvE2_clEvEUlfE_EEvSC_T1_T2_EUlP25hiprandStatePhilox4_32_10E_ZNS1_27distribution_nullary_kernelIS7_f15HIP_vector_typeIdLj2EES9_SL_SG_EEvSC_SI_RKT3_T4_EUlifE0_EEvlNS_15PhiloxCudaStateESH_SI_,@function
_ZN2at6native12_GLOBAL__N_143distribution_elementwise_grid_stride_kernelIfLi4EZNS0_9templates4cuda21uniform_and_transformIN3c108BFloat16EfPNS_17CUDAGeneratorImplEZZZNS4_13cauchy_kernelIS9_EEvRNS_18TensorIteratorBaseEddT_ENKUlvE_clEvENKUlvE2_clEvEUlfE_EEvSC_T1_T2_EUlP25hiprandStatePhilox4_32_10E_ZNS1_27distribution_nullary_kernelIS7_f15HIP_vector_typeIdLj2EES9_SL_SG_EEvSC_SI_RKT3_T4_EUlifE0_EEvlNS_15PhiloxCudaStateESH_SI_: ; @_ZN2at6native12_GLOBAL__N_143distribution_elementwise_grid_stride_kernelIfLi4EZNS0_9templates4cuda21uniform_and_transformIN3c108BFloat16EfPNS_17CUDAGeneratorImplEZZZNS4_13cauchy_kernelIS9_EEvRNS_18TensorIteratorBaseEddT_ENKUlvE_clEvENKUlvE2_clEvEUlfE_EEvSC_T1_T2_EUlP25hiprandStatePhilox4_32_10E_ZNS1_27distribution_nullary_kernelIS7_f15HIP_vector_typeIdLj2EES9_SL_SG_EEvSC_SI_RKT3_T4_EUlifE0_EEvlNS_15PhiloxCudaStateESH_SI_
; %bb.0:
	s_load_dword s2, s[4:5], 0x20
	s_load_dwordx2 s[0:1], s[4:5], 0x10
	s_load_dwordx4 s[16:19], s[4:5], 0x0
	s_waitcnt lgkmcnt(0)
	s_bitcmp0_b32 s2, 0
	s_mov_b32 s2, 0
	v_pk_mov_b32 v[2:3], s[0:1], s[0:1] op_sel:[0,1]
	v_pk_mov_b32 v[12:13], s[18:19], s[18:19] op_sel:[0,1]
	s_cbranch_scc1 .LBB13_2
; %bb.1:
	v_pk_mov_b32 v[2:3], s[0:1], s[0:1] op_sel:[0,1]
	flat_load_dwordx2 v[2:3], v[2:3]
	v_pk_mov_b32 v[4:5], s[18:19], s[18:19] op_sel:[0,1]
	flat_load_dwordx2 v[12:13], v[4:5]
	s_load_dwordx2 s[0:1], s[4:5], 0x18
	s_waitcnt lgkmcnt(0)
	v_mov_b32_e32 v1, s1
	s_waitcnt vmcnt(0)
	v_add_co_u32_e32 v2, vcc, s0, v2
	v_addc_co_u32_e32 v3, vcc, v3, v1, vcc
.LBB13_2:
	s_load_dword s0, s[4:5], 0x154
	s_load_dword s7, s[4:5], 0x148
	s_waitcnt lgkmcnt(0)
	s_and_b32 s8, s0, 0xffff
	s_add_u32 s9, s16, -1
	s_mul_i32 s33, s7, s8
	s_addc_u32 s3, s17, -1
	s_lshl_b32 s58, s33, 2
	s_cmp_lg_u64 s[2:3], 0
	s_mov_b64 s[0:1], -1
	s_cbranch_scc0 .LBB13_59
; %bb.3:
	v_cvt_f32_u32_e32 v1, s58
	v_cvt_f32_ubyte0_e32 v4, 0
	s_sub_u32 s2, 0, s58
	s_subb_u32 s10, 0, 0
	v_madmk_f32 v1, v4, 0x4f800000, v1
	v_rcp_f32_e32 v1, v1
	v_mul_f32_e32 v1, 0x5f7ffffc, v1
	v_mul_f32_e32 v4, 0x2f800000, v1
	v_trunc_f32_e32 v4, v4
	v_madmk_f32 v1, v4, 0xcf800000, v1
	v_cvt_u32_f32_e32 v4, v4
	v_cvt_u32_f32_e32 v1, v1
	v_readfirstlane_b32 s11, v4
	v_readfirstlane_b32 s12, v1
	s_mul_i32 s13, s2, s11
	s_mul_hi_u32 s15, s2, s12
	s_mul_i32 s14, s10, s12
	s_add_i32 s13, s15, s13
	s_add_i32 s13, s13, s14
	s_mul_i32 s18, s2, s12
	s_mul_hi_u32 s14, s12, s13
	s_mul_i32 s15, s12, s13
	s_mul_hi_u32 s12, s12, s18
	s_add_u32 s12, s12, s15
	s_addc_u32 s14, 0, s14
	s_mul_hi_u32 s19, s11, s18
	s_mul_i32 s18, s11, s18
	s_add_u32 s12, s12, s18
	s_mul_hi_u32 s15, s11, s13
	s_addc_u32 s12, s14, s19
	s_addc_u32 s14, s15, 0
	s_mul_i32 s13, s11, s13
	s_add_u32 s12, s12, s13
	s_addc_u32 s13, 0, s14
	v_add_co_u32_e32 v1, vcc, s12, v1
	s_cmp_lg_u64 vcc, 0
	s_addc_u32 s11, s11, s13
	v_readfirstlane_b32 s13, v1
	s_mul_i32 s12, s2, s11
	s_mul_hi_u32 s14, s2, s13
	s_add_i32 s12, s14, s12
	s_mul_i32 s10, s10, s13
	s_add_i32 s12, s12, s10
	s_mul_i32 s2, s2, s13
	s_mul_hi_u32 s14, s11, s2
	s_mul_i32 s15, s11, s2
	s_mul_i32 s19, s13, s12
	s_mul_hi_u32 s2, s13, s2
	s_mul_hi_u32 s18, s13, s12
	s_add_u32 s2, s2, s19
	s_addc_u32 s13, 0, s18
	s_add_u32 s2, s2, s15
	s_mul_hi_u32 s10, s11, s12
	s_addc_u32 s2, s13, s14
	s_addc_u32 s10, s10, 0
	s_mul_i32 s12, s11, s12
	s_add_u32 s2, s2, s12
	s_addc_u32 s10, 0, s10
	v_add_co_u32_e32 v1, vcc, s2, v1
	s_cmp_lg_u64 vcc, 0
	s_addc_u32 s12, s11, s10
	s_ashr_i32 s10, s3, 31
	s_add_u32 s2, s9, s10
	s_mov_b32 s11, s10
	s_addc_u32 s3, s3, s10
	s_xor_b64 s[2:3], s[2:3], s[10:11]
	v_readfirstlane_b32 s15, v1
	s_mul_i32 s14, s2, s12
	s_mul_hi_u32 s18, s2, s15
	s_mul_hi_u32 s13, s2, s12
	s_add_u32 s14, s18, s14
	s_addc_u32 s13, 0, s13
	s_mul_hi_u32 s19, s3, s15
	s_mul_i32 s15, s3, s15
	s_add_u32 s14, s14, s15
	s_mul_hi_u32 s18, s3, s12
	s_addc_u32 s13, s13, s19
	s_addc_u32 s14, s18, 0
	s_mul_i32 s12, s3, s12
	s_add_u32 s12, s13, s12
	s_addc_u32 s13, 0, s14
	s_add_u32 s14, s12, 1
	s_addc_u32 s15, s13, 0
	s_add_u32 s18, s12, 2
	s_mul_i32 s20, s58, s13
	s_mul_hi_u32 s21, s58, s12
	s_addc_u32 s19, s13, 0
	s_add_i32 s21, s21, s20
	s_mul_i32 s20, s58, s12
	v_mov_b32_e32 v1, s20
	v_sub_co_u32_e32 v1, vcc, s2, v1
	s_cmp_lg_u64 vcc, 0
	s_subb_u32 s2, s3, s21
	v_subrev_co_u32_e32 v4, vcc, s58, v1
	s_cmp_lg_u64 vcc, 0
	s_subb_u32 s3, s2, 0
	v_readfirstlane_b32 s20, v4
	s_cmp_ge_u32 s20, s58
	s_cselect_b32 s20, -1, 0
	s_cmp_eq_u32 s3, 0
	s_cselect_b32 s3, s20, -1
	s_cmp_lg_u32 s3, 0
	s_cselect_b32 s3, s19, s15
	v_readfirstlane_b32 s15, v1
	s_cselect_b32 s14, s18, s14
	s_cmp_ge_u32 s15, s58
	s_cselect_b32 s15, -1, 0
	s_cmp_eq_u32 s2, 0
	s_cselect_b32 s2, s15, -1
	s_cmp_lg_u32 s2, 0
	s_cselect_b32 s3, s3, s13
	s_cselect_b32 s2, s14, s12
	s_xor_b64 s[2:3], s[2:3], s[10:11]
	s_sub_u32 s2, s2, s10
	s_subb_u32 s3, s3, s10
	s_cbranch_execnz .LBB13_5
.LBB13_4:
	v_cvt_f32_u32_e32 v1, s58
	s_sub_i32 s0, 0, s58
	s_mov_b32 s3, 0
	v_rcp_iflag_f32_e32 v1, v1
	v_mul_f32_e32 v1, 0x4f7ffffe, v1
	v_cvt_u32_f32_e32 v1, v1
	v_readfirstlane_b32 s1, v1
	s_mul_i32 s0, s0, s1
	s_mul_hi_u32 s0, s1, s0
	s_add_i32 s1, s1, s0
	s_mul_hi_u32 s0, s9, s1
	s_mul_i32 s2, s0, s58
	s_sub_i32 s2, s9, s2
	s_add_i32 s1, s0, 1
	s_sub_i32 s9, s2, s58
	s_cmp_ge_u32 s2, s58
	s_cselect_b32 s0, s1, s0
	s_cselect_b32 s2, s9, s2
	s_add_i32 s1, s0, 1
	s_cmp_ge_u32 s2, s58
	s_cselect_b32 s2, s1, s0
.LBB13_5:
	v_mov_b32_e32 v1, 0
	v_mov_b32_e32 v4, s6
	v_mad_u64_u32 v[14:15], s[0:1], s8, v4, v[0:1]
	s_add_u32 s0, s2, 1
	s_addc_u32 s1, s3, 0
	s_mul_hi_u32 s2, s7, s8
	s_mul_i32 s1, s33, s1
	s_mul_hi_u32 s3, s33, s0
	s_add_i32 s1, s3, s1
	s_mul_i32 s2, s2, s0
	s_add_i32 s1, s1, s2
	s_mul_i32 s0, s33, s0
	s_lshl_b64 s[18:19], s[0:1], 2
	v_cmp_gt_i64_e32 vcc, s[18:19], v[14:15]
	s_and_saveexec_b64 s[0:1], vcc
	s_cbranch_execz .LBB13_58
; %bb.6:
	s_mov_b32 s0, 0x5384540f
	v_mov_b32_e32 v0, v13
	v_add_co_u32_e32 v22, vcc, s0, v12
	s_mov_b32 s0, 0x646e171e
	v_add_co_u32_e32 v23, vcc, s0, v0
	s_mov_b32 s0, 0x1715609d
	;; [unrolled: 2-line block ×6, first 2 shown]
	v_alignbit_b32 v29, v3, v2, 2
	s_mov_b32 s60, 0xd2511f53
	v_add_co_u32_e32 v28, vcc, s0, v12
	v_mad_u64_u32 v[4:5], s[0:1], v29, s60, 0
	v_and_b32_e32 v18, 3, v2
	v_xor_b32_e32 v2, v5, v13
	v_xor_b32_e32 v2, v2, v15
	s_mov_b32 s61, 0xcd9e8d57
	v_mad_u64_u32 v[6:7], s[0:1], v2, s61, 0
	v_xor_b32_e32 v2, v28, v7
	v_mad_u64_u32 v[8:9], s[0:1], v14, s61, 0
	v_xor_b32_e32 v2, v2, v8
	;; [unrolled: 2-line block ×3, first 2 shown]
	v_lshrrev_b32_e32 v30, 2, v3
	v_xor_b32_e32 v2, v2, v30
	v_xor_b32_e32 v5, v27, v11
	v_mad_u64_u32 v[2:3], s[0:1], v2, s60, 0
	v_xor_b32_e32 v2, v5, v2
	v_mad_u64_u32 v[8:9], s[0:1], v2, s61, 0
	s_mov_b32 s0, 0xbb67ae85
	v_add_co_u32_e32 v31, vcc, s0, v0
	v_xor_b32_e32 v2, v31, v3
	v_xor_b32_e32 v2, v2, v4
	v_xor_b32_e32 v5, v26, v9
	v_mad_u64_u32 v[2:3], s[0:1], v2, s61, 0
	v_xor_b32_e32 v2, v5, v2
	v_mad_u64_u32 v[4:5], s[0:1], v2, s60, 0
	s_mov_b32 s0, 0x3c6ef372
	v_add_co_u32_e32 v32, vcc, s0, v12
	v_xor_b32_e32 v2, v32, v3
	;; [unrolled: 8-line block ×6, first 2 shown]
	v_add_co_u32_e32 v21, vcc, 0xdb3d7428, v0
	v_xor_b32_e32 v2, v2, v6
	v_xor_b32_e32 v5, v21, v5
	v_mad_u64_u32 v[2:3], s[0:1], v2, s60, 0
	v_xor_b32_e32 v2, v5, v2
	v_mad_u64_u32 v[16:17], s[0:1], v2, s61, 0
	s_mov_b32 s0, 0x1fd5c5a3
	v_add_co_u32_e32 v37, vcc, s0, v0
	v_xor_b32_e32 v0, v37, v3
	v_xor_b32_e32 v0, v0, v10
	v_mad_u64_u32 v[2:3], s[0:1], v0, s61, 0
	s_mov_b32 s0, 0xf1bbcdc8
	s_load_dwordx8 s[8:15], s[4:5], 0x30
	v_add_u32_e32 v19, 0x8ff34781, v12
	v_xor_b32_e32 v0, v17, v2
	v_add_co_u32_e32 v38, vcc, s0, v12
	v_xor_b32_e32 v6, v19, v0
	v_xor_b32_e32 v0, v38, v3
	;; [unrolled: 1-line block ×3, first 2 shown]
	s_add_u32 s34, s4, 48
	v_mad_u64_u32 v[2:3], s[0:1], v0, s60, 0
	s_addc_u32 s35, s5, 0
	s_waitcnt lgkmcnt(0)
	s_add_i32 s0, s8, -1
	s_cmp_lt_u32 s0, 2
	s_cselect_b64 s[36:37], -1, 0
	s_cmp_lg_u32 s8, 0
	s_cselect_b64 s[38:39], -1, 0
	s_add_u32 s40, s4, 0xf4
	s_addc_u32 s41, s5, 0
	s_min_u32 s1, s0, 15
	s_cmp_gt_u32 s8, 1
	s_cselect_b64 s[42:43], -1, 0
	s_add_i32 s1, s1, 1
	s_mov_b32 s8, s13
	s_load_dwordx2 s[44:45], s[4:5], 0xf4
	s_load_dwordx4 s[20:23], s[4:5], 0x138
	s_and_b32 s13, s1, 3
	s_cmp_lg_u32 s0, 2
	s_cselect_b64 s[46:47], -1, 0
	s_and_b32 s15, s1, 28
	v_add_u32_e32 v20, 0x96a522ad, v13
	v_xor_b32_e32 v0, v3, v4
	s_cmp_lg_u32 s13, 0
	s_mov_b32 s59, 0
	v_xor_b32_e32 v8, v20, v0
	v_mov_b32_e32 v7, v16
	v_mov_b32_e32 v9, v2
	s_mov_b64 s[48:49], 0
	s_cselect_b64 s[50:51], -1, 0
	s_mov_b32 s62, 0x3f7ffffe
	s_brev_b32 s63, 44
	s_brev_b32 s64, 18
	s_mov_b32 s65, 0xfe5163ab
	s_mov_b32 s66, 0x3c439041
	;; [unrolled: 1-line block ×10, first 2 shown]
	v_mov_b32_e32 v39, 0x3f93f425
	s_movk_i32 s75, 0x1f8
	s_movk_i32 s76, 0x7fff
	v_mov_b32_e32 v40, 0x3f7ffffe
	v_bfrev_b32_e32 v41, 44
	v_not_b32_e32 v42, 63
	v_not_b32_e32 v43, 31
	v_mov_b32_e32 v44, 0x7fc00000
	v_mov_b32_e32 v45, 0x7fc0
	;; [unrolled: 1-line block ×4, first 2 shown]
	s_branch .LBB13_9
.LBB13_7:                               ;   in Loop: Header=BB13_9 Depth=1
	s_or_b64 exec, exec, s[0:1]
	v_mul_f32_e32 v9, v0, v0
	v_mov_b32_e32 v10, 0xbf039337
	v_fmac_f32_e32 v10, 0x3c971480, v9
	v_fma_f32 v10, v9, v10, v39
	v_rcp_f32_e32 v10, v10
	v_mov_b32_e32 v11, 0x3ec54587
	v_fmac_f32_e32 v11, 0xbc8cedd3, v9
	v_and_b32_e32 v8, 1, v8
	v_mul_f32_e32 v10, v11, v10
	v_mul_f32_e32 v9, v9, v10
	v_fma_f32 v10, v9, v0, v0
	v_rcp_f32_e32 v11, v10
	v_sub_f32_e32 v17, v10, v0
	v_fma_f32 v0, v9, v0, -v17
	v_cmp_eq_u32_e32 vcc, 0, v8
	v_fma_f32 v9, v10, -v11, 1.0
	v_fma_f32 v0, v0, -v11, v9
	v_fma_f32 v0, v0, -v11, -v11
	v_cndmask_b32_e32 v0, v0, v10, vcc
	v_xor_b32_e32 v7, v7, v5
	v_xor_b32_e32 v0, v7, v0
	v_cmp_class_f32_e64 vcc, v5, s75
	v_cndmask_b32_e32 v0, v44, v0, vcc
	s_waitcnt lgkmcnt(0)
	v_mov_b32_e32 v5, s22
	v_fma_f32 v0, s23, v0, v5
	v_bfe_u32 v5, v0, 16, 1
	v_add3_u32 v5, v0, v5, s76
	v_lshrrev_b32_e32 v5, 16, v5
	v_cmp_o_f32_e32 vcc, v0, v0
	v_cndmask_b32_e32 v0, v45, v5, vcc
	global_store_short v6, v0, s[20:21]
.LBB13_8:                               ;   in Loop: Header=BB13_9 Depth=1
	s_or_b64 exec, exec, s[52:53]
	v_add_co_u32_e32 v14, vcc, s58, v14
	v_mov_b32_e32 v5, v16
	v_addc_co_u32_e32 v15, vcc, 0, v15, vcc
	v_cmp_le_i64_e32 vcc, s[18:19], v[14:15]
	v_pk_mov_b32 v[8:9], v[4:5], v[4:5] op_sel:[0,1]
	s_or_b64 s[48:49], vcc, s[48:49]
	v_pk_mov_b32 v[6:7], v[2:3], v[2:3] op_sel:[0,1]
	s_waitcnt lgkmcnt(0)
	s_barrier
	s_andn2_b64 exec, exec, s[48:49]
	s_cbranch_execz .LBB13_58
.LBB13_9:                               ; =>This Loop Header: Depth=1
                                        ;     Child Loop BB13_28 Depth 2
                                        ;     Child Loop BB13_33 Depth 2
	;; [unrolled: 1-line block ×4, first 2 shown]
	v_add_co_u32_e32 v29, vcc, 1, v29
	v_cndmask_b32_e64 v0, 0, 1, vcc
	v_addc_co_u32_e32 v30, vcc, 0, v30, vcc
	v_cmp_eq_u32_e32 vcc, 0, v30
	v_cndmask_b32_e32 v0, 0, v0, vcc
	v_add_u32_e32 v46, v0, v46
	v_cmp_eq_u32_e32 vcc, 0, v46
	v_cndmask_b32_e32 v0, 0, v0, vcc
	v_mad_u64_u32 v[2:3], s[0:1], v29, s60, 0
	v_mad_u64_u32 v[4:5], s[0:1], v46, s61, 0
	v_add_u32_e32 v47, v0, v47
	v_xor_b32_e32 v0, v5, v12
	v_xor_b32_e32 v3, v3, v13
	v_xor_b32_e32 v0, v30, v0
	v_xor_b32_e32 v3, v47, v3
	v_mad_u64_u32 v[10:11], s[0:1], v0, s60, 0
	v_mad_u64_u32 v[16:17], s[0:1], v3, s61, 0
	v_xor_b32_e32 v0, v28, v17
	v_xor_b32_e32 v3, v31, v11
	v_xor_b32_e32 v0, v0, v4
	v_xor_b32_e32 v4, v3, v2
	v_mad_u64_u32 v[2:3], s[0:1], v0, s60, 0
	v_mad_u64_u32 v[4:5], s[0:1], v4, s61, 0
	;; [unrolled: 6-line block ×9, first 2 shown]
	v_xor_b32_e32 v0, v11, v2
	v_xor_b32_e32 v2, v19, v0
	v_xor_b32_e32 v0, v17, v4
	v_xor_b32_e32 v11, v20, v0
	v_mov_b32_e32 v3, v10
	v_mov_b32_e32 v4, v11
	v_cmp_lt_i32_e32 vcc, 1, v18
	s_and_saveexec_b64 s[0:1], vcc
	s_xor_b64 s[0:1], exec, s[0:1]
	s_cbranch_execnz .LBB13_12
; %bb.10:                               ;   in Loop: Header=BB13_9 Depth=1
	s_andn2_saveexec_b64 s[0:1], s[0:1]
	s_cbranch_execnz .LBB13_17
.LBB13_11:                              ;   in Loop: Header=BB13_9 Depth=1
	s_or_b64 exec, exec, s[0:1]
	v_cmp_gt_i64_e32 vcc, s[16:17], v[14:15]
	s_and_saveexec_b64 s[52:53], vcc
	s_cbranch_execnz .LBB13_20
	s_branch .LBB13_39
.LBB13_12:                              ;   in Loop: Header=BB13_9 Depth=1
	v_cmp_lt_i32_e32 vcc, 2, v18
	s_and_saveexec_b64 s[2:3], vcc
	s_xor_b64 s[2:3], exec, s[2:3]
; %bb.13:                               ;   in Loop: Header=BB13_9 Depth=1
	v_mov_b32_e32 v8, v9
	v_mov_b32_e32 v9, v2
	v_pk_mov_b32 v[6:7], v[8:9], v[8:9] op_sel:[0,1]
	v_pk_mov_b32 v[8:9], v[10:11], v[10:11] op_sel:[0,1]
                                        ; implicit-def: $vgpr10_vgpr11
; %bb.14:                               ;   in Loop: Header=BB13_9 Depth=1
	s_andn2_saveexec_b64 s[2:3], s[2:3]
; %bb.15:                               ;   in Loop: Header=BB13_9 Depth=1
	v_mov_b32_e32 v6, v8
	v_mov_b32_e32 v7, v9
	;; [unrolled: 1-line block ×4, first 2 shown]
; %bb.16:                               ;   in Loop: Header=BB13_9 Depth=1
	s_or_b64 exec, exec, s[2:3]
	s_andn2_saveexec_b64 s[0:1], s[0:1]
	s_cbranch_execz .LBB13_11
.LBB13_17:                              ;   in Loop: Header=BB13_9 Depth=1
	v_cmp_eq_u32_e32 vcc, 1, v18
	s_and_saveexec_b64 s[2:3], vcc
; %bb.18:                               ;   in Loop: Header=BB13_9 Depth=1
	v_mov_b32_e32 v6, v7
	v_mov_b32_e32 v7, v8
	;; [unrolled: 1-line block ×4, first 2 shown]
; %bb.19:                               ;   in Loop: Header=BB13_9 Depth=1
	s_or_b64 exec, exec, s[2:3]
	s_or_b64 exec, exec, s[0:1]
	v_cmp_gt_i64_e32 vcc, s[16:17], v[14:15]
	s_and_saveexec_b64 s[52:53], vcc
	s_cbranch_execz .LBB13_39
.LBB13_20:                              ;   in Loop: Header=BB13_9 Depth=1
	s_and_b64 vcc, exec, s[36:37]
	s_cbranch_vccz .LBB13_24
; %bb.21:                               ;   in Loop: Header=BB13_9 Depth=1
	v_mul_hi_u32 v0, v14, s10
	v_add_u32_e32 v0, v0, v14
	v_lshrrev_b32_e32 v0, s11, v0
	v_mul_lo_u32 v5, v0, s9
	v_sub_u32_e32 v5, v14, v5
	s_andn2_b64 vcc, exec, s[42:43]
	s_waitcnt lgkmcnt(0)
	v_mul_lo_u32 v10, v5, s44
	s_cbranch_vccnz .LBB13_23
; %bb.22:                               ;   in Loop: Header=BB13_9 Depth=1
	v_mul_hi_u32 v5, s8, v0
	v_add_u32_e32 v5, v0, v5
	v_lshrrev_b32_e32 v5, s14, v5
	v_mul_lo_u32 v5, v5, s12
	v_sub_u32_e32 v0, v0, v5
	v_mad_u64_u32 v[10:11], s[0:1], v0, s45, v[10:11]
.LBB13_23:                              ;   in Loop: Header=BB13_9 Depth=1
	s_cbranch_execz .LBB13_25
	s_branch .LBB13_34
.LBB13_24:                              ;   in Loop: Header=BB13_9 Depth=1
                                        ; implicit-def: $vgpr10
.LBB13_25:                              ;   in Loop: Header=BB13_9 Depth=1
	s_andn2_b64 vcc, exec, s[38:39]
	s_cbranch_vccnz .LBB13_30
; %bb.26:                               ;   in Loop: Header=BB13_9 Depth=1
	s_mov_b32 s2, 0
	s_andn2_b64 vcc, exec, s[46:47]
	v_mov_b32_e32 v10, 0
	s_cbranch_vccnz .LBB13_31
; %bb.27:                               ;   in Loop: Header=BB13_9 Depth=1
	s_mov_b32 s77, 0
	v_mov_b32_e32 v10, 0
	s_mov_b64 s[54:55], s[34:35]
	s_mov_b64 s[56:57], s[40:41]
	v_mov_b32_e32 v0, v14
.LBB13_28:                              ;   Parent Loop BB13_9 Depth=1
                                        ; =>  This Inner Loop Header: Depth=2
	s_load_dwordx8 s[0:7], s[54:55], 0x4
	s_load_dwordx4 s[24:27], s[54:55], 0x24
	s_load_dwordx4 s[28:31], s[56:57], 0x0
	s_add_u32 s54, s54, 48
	s_addc_u32 s55, s55, 0
	s_waitcnt lgkmcnt(0)
	v_mul_hi_u32 v5, s1, v0
	v_add_u32_e32 v5, v0, v5
	v_lshrrev_b32_e32 v5, s2, v5
	v_mul_lo_u32 v11, v5, s0
	v_mul_hi_u32 v17, s4, v5
	v_sub_u32_e32 v0, v0, v11
	v_add_u32_e32 v11, v5, v17
	v_lshrrev_b32_e32 v11, s5, v11
	v_mul_lo_u32 v17, v11, s3
	v_mul_hi_u32 v48, s7, v11
	v_sub_u32_e32 v5, v5, v17
	v_add_u32_e32 v17, v11, v48
	v_mul_lo_u32 v0, v0, s28
	v_mul_lo_u32 v5, v5, s29
	v_lshrrev_b32_e32 v17, s24, v17
	v_add3_u32 v5, v0, v10, v5
	v_mul_lo_u32 v0, v17, s6
	v_mul_hi_u32 v10, s26, v17
	v_sub_u32_e32 v0, v11, v0
	v_add_u32_e32 v10, v17, v10
	v_mul_lo_u32 v11, v0, s30
	v_lshrrev_b32_e32 v0, s27, v10
	s_add_i32 s77, s77, 4
	v_mul_lo_u32 v10, v0, s25
	s_add_u32 s56, s56, 16
	v_sub_u32_e32 v10, v17, v10
	s_addc_u32 s57, s57, 0
	v_mul_lo_u32 v10, v10, s31
	s_cmp_lg_u32 s15, s77
	v_add3_u32 v10, v11, v5, v10
	s_cbranch_scc1 .LBB13_28
; %bb.29:                               ;   in Loop: Header=BB13_9 Depth=1
	s_mov_b32 s2, s15
	s_andn2_b64 vcc, exec, s[50:51]
	s_cbranch_vccz .LBB13_32
	s_branch .LBB13_34
.LBB13_30:                              ;   in Loop: Header=BB13_9 Depth=1
	v_mov_b32_e32 v10, 0
	s_branch .LBB13_34
.LBB13_31:                              ;   in Loop: Header=BB13_9 Depth=1
	v_mov_b32_e32 v0, v14
	s_andn2_b64 vcc, exec, s[50:51]
	s_cbranch_vccnz .LBB13_34
.LBB13_32:                              ;   in Loop: Header=BB13_9 Depth=1
	s_lshl_b32 s0, s2, 2
	s_add_u32 s0, s40, s0
	s_addc_u32 s1, s41, 0
	s_mul_i32 s2, s2, 12
	s_add_u32 s2, s34, s2
	s_addc_u32 s3, s35, 0
	s_mov_b32 s4, s13
.LBB13_33:                              ;   Parent Loop BB13_9 Depth=1
                                        ; =>  This Inner Loop Header: Depth=2
	s_load_dwordx2 s[6:7], s[2:3], 0x4
	s_load_dword s5, s[2:3], 0xc
	s_load_dword s24, s[0:1], 0x0
	s_add_u32 s2, s2, 12
	s_addc_u32 s3, s3, 0
	s_waitcnt lgkmcnt(0)
	v_mul_hi_u32 v5, s7, v0
	v_add_u32_e32 v5, v0, v5
	v_lshrrev_b32_e32 v5, s5, v5
	s_add_u32 s0, s0, 4
	v_mul_lo_u32 v11, v5, s6
	s_addc_u32 s1, s1, 0
	s_add_i32 s4, s4, -1
	v_sub_u32_e32 v11, v0, v11
	s_cmp_eq_u32 s4, 0
	v_mov_b32_e32 v0, v5
	v_mad_u64_u32 v[10:11], s[6:7], v11, s24, v[10:11]
	s_cbranch_scc0 .LBB13_33
.LBB13_34:                              ;   in Loop: Header=BB13_9 Depth=1
	v_lshrrev_b32_e32 v0, 11, v7
	v_cvt_f64_u32_e32 v[48:49], v0
	v_ldexp_f64 v[48:49], v[48:49], 32
	v_cvt_f64_u32_e32 v[6:7], v6
	v_add_f64 v[6:7], v[48:49], v[6:7]
	v_mov_b32_e32 v48, 0
	v_mov_b32_e32 v49, 0x3ca00000
	v_fmac_f64_e32 v[48:49], 0x3ca00000, v[6:7]
	v_cvt_f32_f64_e32 v0, v[48:49]
	v_cmp_nlt_f32_e32 vcc, s62, v0
	v_cndmask_b32_e32 v0, v40, v0, vcc
	v_cmp_ngt_f32_e32 vcc, s63, v0
	v_cndmask_b32_e32 v0, v41, v0, vcc
	v_add_f32_e32 v0, -0.5, v0
	v_mul_f32_e32 v5, 0x40490fdb, v0
	v_and_b32_e32 v6, 0x7fffffff, v5
	v_cmp_nlt_f32_e64 s[0:1], |v5|, s64
                                        ; implicit-def: $vgpr7
                                        ; implicit-def: $vgpr0
	s_and_saveexec_b64 s[2:3], s[0:1]
	s_xor_b64 s[6:7], exec, s[2:3]
	s_cbranch_execz .LBB13_36
; %bb.35:                               ;   in Loop: Header=BB13_9 Depth=1
	v_lshrrev_b32_e32 v0, 23, v6
	v_add_u32_e32 v0, 0xffffff88, v0
	v_cmp_lt_u32_e32 vcc, 63, v0
	v_cndmask_b32_e32 v7, 0, v42, vcc
	v_add_u32_e32 v0, v7, v0
	v_cmp_lt_u32_e64 s[0:1], 31, v0
	v_cndmask_b32_e64 v7, 0, v43, s[0:1]
	v_add_u32_e32 v0, v7, v0
	v_cmp_lt_u32_e64 s[2:3], 31, v0
	v_cndmask_b32_e64 v7, 0, v43, s[2:3]
	v_add_u32_e32 v7, v7, v0
	v_and_b32_e32 v0, 0x7fffff, v6
	v_or_b32_e32 v11, 0x800000, v0
	v_mad_u64_u32 v[48:49], s[4:5], v11, s65, 0
	v_mov_b32_e32 v0, v49
	v_mad_u64_u32 v[50:51], s[4:5], v11, s66, v[0:1]
	v_mov_b32_e32 v0, v51
	;; [unrolled: 2-line block ×6, first 2 shown]
	v_mad_u64_u32 v[60:61], s[4:5], v11, s71, v[0:1]
	v_cndmask_b32_e32 v17, v58, v54, vcc
	v_cndmask_b32_e32 v0, v60, v56, vcc
	;; [unrolled: 1-line block ×3, first 2 shown]
	v_cndmask_b32_e64 v11, v0, v17, s[0:1]
	v_cndmask_b32_e64 v0, v49, v0, s[0:1]
	v_cndmask_b32_e32 v49, v56, v52, vcc
	v_cndmask_b32_e64 v17, v17, v49, s[0:1]
	v_cndmask_b32_e64 v0, v0, v11, s[2:3]
	;; [unrolled: 1-line block ×3, first 2 shown]
	v_sub_u32_e32 v51, 32, v7
	v_alignbit_b32 v53, v0, v11, v51
	v_cmp_eq_u32_e64 s[4:5], 0, v7
	v_cndmask_b32_e64 v7, v53, v0, s[4:5]
	v_cndmask_b32_e32 v0, v54, v50, vcc
	v_cndmask_b32_e64 v49, v49, v0, s[0:1]
	v_cndmask_b32_e64 v17, v17, v49, s[2:3]
	v_alignbit_b32 v50, v11, v17, v51
	v_cndmask_b32_e32 v48, v52, v48, vcc
	v_cndmask_b32_e64 v11, v50, v11, s[4:5]
	v_bfe_u32 v54, v7, 29, 1
	v_cndmask_b32_e64 v0, v0, v48, s[0:1]
	v_alignbit_b32 v50, v7, v11, 30
	v_sub_u32_e32 v55, 0, v54
	v_cndmask_b32_e64 v0, v49, v0, s[2:3]
	v_xor_b32_e32 v56, v50, v55
	v_alignbit_b32 v48, v17, v0, v51
	v_cndmask_b32_e64 v17, v48, v17, s[4:5]
	v_ffbh_u32_e32 v48, v56
	v_add_u32_e32 v48, 1, v48
	v_cmp_ne_u32_e32 vcc, v50, v55
	v_alignbit_b32 v11, v11, v17, 30
	v_cndmask_b32_e32 v48, 33, v48, vcc
	v_alignbit_b32 v0, v17, v0, 30
	v_xor_b32_e32 v11, v11, v55
	v_sub_u32_e32 v49, 32, v48
	v_xor_b32_e32 v0, v0, v55
	v_alignbit_b32 v50, v56, v11, v49
	v_alignbit_b32 v0, v11, v0, v49
	;; [unrolled: 1-line block ×3, first 2 shown]
	v_ffbh_u32_e32 v17, v11
	v_min_u32_e32 v17, 32, v17
	v_lshrrev_b32_e32 v53, 29, v7
	v_sub_u32_e32 v49, 31, v17
	v_alignbit_b32 v0, v11, v0, v49
	v_lshlrev_b32_e32 v11, 31, v53
	v_or_b32_e32 v49, 0x33800000, v11
	v_add_lshl_u32 v17, v17, v48, 23
	v_lshrrev_b32_e32 v0, 9, v0
	v_sub_u32_e32 v17, v49, v17
	v_or_b32_e32 v0, v17, v0
	v_alignbit_b32 v17, v48, v50, 9
	v_or_b32_e32 v11, v17, v11
	v_xor_b32_e32 v11, 1.0, v11
	v_mul_f32_e32 v17, 0x3fc90fda, v11
	v_fma_f32 v48, v11, s72, -v17
	v_fmac_f32_e32 v48, 0x33a22168, v11
	v_fmac_f32_e32 v48, 0x3fc90fda, v0
	v_lshrrev_b32_e32 v7, 30, v7
	v_add_f32_e32 v0, v17, v48
	v_add_u32_e32 v7, v54, v7
.LBB13_36:                              ;   in Loop: Header=BB13_9 Depth=1
	s_andn2_saveexec_b64 s[0:1], s[6:7]
; %bb.37:                               ;   in Loop: Header=BB13_9 Depth=1
	v_mul_f32_e64 v0, |v5|, s73
	v_rndne_f32_e32 v11, v0
	v_cvt_i32_f32_e32 v7, v11
	v_fma_f32 v0, v11, s74, |v5|
	v_fmac_f32_e32 v0, 0xb3a22168, v11
	v_fmac_f32_e32 v0, 0xa7c234c4, v11
; %bb.38:                               ;   in Loop: Header=BB13_9 Depth=1
	s_or_b64 exec, exec, s[0:1]
	v_mul_f32_e32 v11, v0, v0
	v_mov_b32_e32 v17, 0xbf039337
	v_fmac_f32_e32 v17, 0x3c971480, v11
	v_fma_f32 v17, v11, v17, v39
	v_rcp_f32_e32 v17, v17
	v_mov_b32_e32 v48, 0x3ec54587
	v_fmac_f32_e32 v48, 0xbc8cedd3, v11
	v_and_b32_e32 v7, 1, v7
	v_mul_f32_e32 v17, v48, v17
	v_mul_f32_e32 v11, v11, v17
	v_fma_f32 v17, v11, v0, v0
	v_rcp_f32_e32 v48, v17
	v_sub_f32_e32 v49, v17, v0
	v_fma_f32 v0, v11, v0, -v49
	v_cmp_eq_u32_e32 vcc, 0, v7
	v_fma_f32 v11, v17, -v48, 1.0
	v_fma_f32 v0, v0, -v48, v11
	v_fma_f32 v0, v0, -v48, -v48
	v_cndmask_b32_e32 v0, v0, v17, vcc
	v_xor_b32_e32 v6, v6, v5
	v_xor_b32_e32 v0, v6, v0
	v_cmp_class_f32_e64 vcc, v5, s75
	v_cndmask_b32_e32 v0, v44, v0, vcc
	s_waitcnt lgkmcnt(0)
	v_mov_b32_e32 v5, s22
	v_fma_f32 v0, s23, v0, v5
	v_bfe_u32 v5, v0, 16, 1
	v_add3_u32 v5, v0, v5, s76
	v_lshrrev_b32_e32 v5, 16, v5
	v_cmp_o_f32_e32 vcc, v0, v0
	v_cndmask_b32_e32 v0, v45, v5, vcc
	global_store_short v10, v0, s[20:21]
.LBB13_39:                              ;   in Loop: Header=BB13_9 Depth=1
	s_or_b64 exec, exec, s[52:53]
	v_mov_b32_e32 v0, s59
	v_add_co_u32_e32 v10, vcc, s33, v14
	v_addc_co_u32_e32 v11, vcc, v15, v0, vcc
	v_cmp_gt_i64_e32 vcc, s[16:17], v[10:11]
	s_and_saveexec_b64 s[52:53], vcc
	s_cbranch_execz .LBB13_8
; %bb.40:                               ;   in Loop: Header=BB13_9 Depth=1
	s_and_b64 vcc, exec, s[36:37]
	s_cbranch_vccz .LBB13_44
; %bb.41:                               ;   in Loop: Header=BB13_9 Depth=1
	v_mul_hi_u32 v0, v10, s10
	v_add_u32_e32 v0, v0, v10
	v_lshrrev_b32_e32 v0, s11, v0
	v_mul_lo_u32 v5, v0, s9
	v_sub_u32_e32 v5, v10, v5
	s_andn2_b64 vcc, exec, s[42:43]
	s_waitcnt lgkmcnt(0)
	v_mul_lo_u32 v6, v5, s44
	s_cbranch_vccnz .LBB13_43
; %bb.42:                               ;   in Loop: Header=BB13_9 Depth=1
	v_mul_hi_u32 v5, s8, v0
	v_add_u32_e32 v5, v0, v5
	v_lshrrev_b32_e32 v5, s14, v5
	v_mul_lo_u32 v5, v5, s12
	v_sub_u32_e32 v0, v0, v5
	v_mad_u64_u32 v[6:7], s[0:1], v0, s45, v[6:7]
.LBB13_43:                              ;   in Loop: Header=BB13_9 Depth=1
	s_cbranch_execz .LBB13_45
	s_branch .LBB13_54
.LBB13_44:                              ;   in Loop: Header=BB13_9 Depth=1
                                        ; implicit-def: $vgpr6
.LBB13_45:                              ;   in Loop: Header=BB13_9 Depth=1
	s_andn2_b64 vcc, exec, s[38:39]
	s_cbranch_vccnz .LBB13_53
; %bb.46:                               ;   in Loop: Header=BB13_9 Depth=1
	s_mov_b32 s2, 0
	s_andn2_b64 vcc, exec, s[46:47]
	v_mov_b32_e32 v6, 0
	s_cbranch_vccnz .LBB13_50
; %bb.47:                               ;   in Loop: Header=BB13_9 Depth=1
	s_mov_b32 s77, 0
	v_mov_b32_e32 v6, 0
	s_mov_b64 s[54:55], s[34:35]
	s_mov_b64 s[56:57], s[40:41]
.LBB13_48:                              ;   Parent Loop BB13_9 Depth=1
                                        ; =>  This Inner Loop Header: Depth=2
	s_load_dwordx8 s[0:7], s[54:55], 0x4
	s_load_dwordx4 s[24:27], s[54:55], 0x24
	s_load_dwordx4 s[28:31], s[56:57], 0x0
	s_add_u32 s54, s54, 48
	s_addc_u32 s55, s55, 0
	s_waitcnt lgkmcnt(0)
	v_mul_hi_u32 v0, s1, v10
	v_add_u32_e32 v0, v10, v0
	v_lshrrev_b32_e32 v0, s2, v0
	v_mul_hi_u32 v7, s4, v0
	v_add_u32_e32 v7, v0, v7
	v_mul_lo_u32 v5, v0, s0
	v_lshrrev_b32_e32 v7, s5, v7
	v_sub_u32_e32 v5, v10, v5
	v_mul_lo_u32 v10, v7, s3
	v_mul_hi_u32 v11, s7, v7
	v_sub_u32_e32 v0, v0, v10
	v_add_u32_e32 v10, v7, v11
	v_mul_lo_u32 v5, v5, s28
	v_mul_lo_u32 v0, v0, s29
	v_lshrrev_b32_e32 v11, s24, v10
	v_add3_u32 v0, v5, v6, v0
	v_mul_hi_u32 v6, s26, v11
	v_add_u32_e32 v6, v11, v6
	v_lshrrev_b32_e32 v10, s27, v6
	s_add_i32 s77, s77, 4
	v_mul_lo_u32 v5, v11, s6
	v_mul_lo_u32 v6, v10, s25
	s_add_u32 s56, s56, 16
	v_sub_u32_e32 v5, v7, v5
	v_sub_u32_e32 v6, v11, v6
	s_addc_u32 s57, s57, 0
	v_mul_lo_u32 v5, v5, s30
	v_mul_lo_u32 v6, v6, s31
	s_cmp_eq_u32 s15, s77
	v_add3_u32 v6, v5, v0, v6
	s_cbranch_scc0 .LBB13_48
; %bb.49:                               ;   in Loop: Header=BB13_9 Depth=1
	s_mov_b32 s2, s15
.LBB13_50:                              ;   in Loop: Header=BB13_9 Depth=1
	s_andn2_b64 vcc, exec, s[50:51]
	s_cbranch_vccnz .LBB13_54
; %bb.51:                               ;   in Loop: Header=BB13_9 Depth=1
	s_lshl_b32 s0, s2, 2
	s_add_u32 s0, s40, s0
	s_addc_u32 s1, s41, 0
	s_mul_i32 s2, s2, 12
	s_add_u32 s2, s34, s2
	s_addc_u32 s3, s35, 0
	s_mov_b32 s4, s13
.LBB13_52:                              ;   Parent Loop BB13_9 Depth=1
                                        ; =>  This Inner Loop Header: Depth=2
	s_load_dwordx2 s[6:7], s[2:3], 0x4
	s_load_dword s5, s[2:3], 0xc
	s_load_dword s24, s[0:1], 0x0
	s_add_u32 s2, s2, 12
	s_addc_u32 s3, s3, 0
	s_waitcnt lgkmcnt(0)
	v_mul_hi_u32 v0, s7, v10
	v_add_u32_e32 v0, v10, v0
	v_lshrrev_b32_e32 v0, s5, v0
	s_add_u32 s0, s0, 4
	v_mul_lo_u32 v5, v0, s6
	s_addc_u32 s1, s1, 0
	s_add_i32 s4, s4, -1
	v_sub_u32_e32 v5, v10, v5
	s_cmp_eq_u32 s4, 0
	v_mov_b32_e32 v10, v0
	v_mad_u64_u32 v[6:7], s[6:7], v5, s24, v[6:7]
	s_cbranch_scc0 .LBB13_52
	s_branch .LBB13_54
.LBB13_53:                              ;   in Loop: Header=BB13_9 Depth=1
	v_mov_b32_e32 v6, 0
.LBB13_54:                              ;   in Loop: Header=BB13_9 Depth=1
	v_lshrrev_b32_e32 v0, 11, v9
	v_cvt_f64_u32_e32 v[10:11], v0
	v_ldexp_f64 v[10:11], v[10:11], 32
	v_cvt_f64_u32_e32 v[8:9], v8
	v_add_f64 v[8:9], v[10:11], v[8:9]
	v_mov_b32_e32 v10, 0
	v_mov_b32_e32 v11, 0x3ca00000
	v_fmac_f64_e32 v[10:11], 0x3ca00000, v[8:9]
	v_cvt_f32_f64_e32 v0, v[10:11]
	v_cmp_nlt_f32_e32 vcc, s62, v0
	v_cndmask_b32_e32 v0, v40, v0, vcc
	v_cmp_ngt_f32_e32 vcc, s63, v0
	v_cndmask_b32_e32 v0, v41, v0, vcc
	v_add_f32_e32 v0, -0.5, v0
	v_mul_f32_e32 v5, 0x40490fdb, v0
	v_and_b32_e32 v7, 0x7fffffff, v5
	v_cmp_nlt_f32_e64 s[0:1], |v5|, s64
                                        ; implicit-def: $vgpr8
                                        ; implicit-def: $vgpr0
	s_and_saveexec_b64 s[2:3], s[0:1]
	s_xor_b64 s[6:7], exec, s[2:3]
	s_cbranch_execz .LBB13_56
; %bb.55:                               ;   in Loop: Header=BB13_9 Depth=1
	v_lshrrev_b32_e32 v0, 23, v7
	v_add_u32_e32 v0, 0xffffff88, v0
	v_cmp_lt_u32_e32 vcc, 63, v0
	v_cndmask_b32_e32 v8, 0, v42, vcc
	v_add_u32_e32 v0, v8, v0
	v_cmp_lt_u32_e64 s[0:1], 31, v0
	v_cndmask_b32_e64 v8, 0, v43, s[0:1]
	v_add_u32_e32 v0, v8, v0
	v_cmp_lt_u32_e64 s[2:3], 31, v0
	v_cndmask_b32_e64 v8, 0, v43, s[2:3]
	v_add_u32_e32 v17, v8, v0
	v_and_b32_e32 v0, 0x7fffff, v7
	v_or_b32_e32 v56, 0x800000, v0
	v_mad_u64_u32 v[8:9], s[4:5], v56, s65, 0
	v_mov_b32_e32 v0, v9
	v_mad_u64_u32 v[10:11], s[4:5], v56, s66, v[0:1]
	v_mov_b32_e32 v0, v11
	;; [unrolled: 2-line block ×6, first 2 shown]
	v_mad_u64_u32 v[56:57], s[4:5], v56, s71, v[0:1]
	v_cndmask_b32_e32 v9, v54, v50, vcc
	v_cndmask_b32_e32 v0, v56, v52, vcc
	;; [unrolled: 1-line block ×3, first 2 shown]
	v_cndmask_b32_e64 v11, v0, v9, s[0:1]
	v_cndmask_b32_e64 v0, v49, v0, s[0:1]
	v_cndmask_b32_e32 v49, v52, v48, vcc
	v_cndmask_b32_e64 v9, v9, v49, s[0:1]
	v_cndmask_b32_e64 v0, v0, v11, s[2:3]
	;; [unrolled: 1-line block ×3, first 2 shown]
	v_sub_u32_e32 v51, 32, v17
	v_alignbit_b32 v52, v0, v11, v51
	v_cmp_eq_u32_e64 s[4:5], 0, v17
	v_cndmask_b32_e64 v17, v52, v0, s[4:5]
	v_cndmask_b32_e32 v0, v50, v10, vcc
	v_cndmask_b32_e64 v10, v49, v0, s[0:1]
	v_cndmask_b32_e64 v9, v9, v10, s[2:3]
	v_alignbit_b32 v49, v11, v9, v51
	v_cndmask_b32_e64 v11, v49, v11, s[4:5]
	v_bfe_u32 v52, v17, 29, 1
	v_cndmask_b32_e32 v8, v48, v8, vcc
	v_alignbit_b32 v49, v17, v11, 30
	v_sub_u32_e32 v53, 0, v52
	v_cndmask_b32_e64 v0, v0, v8, s[0:1]
	v_xor_b32_e32 v54, v49, v53
	v_cndmask_b32_e64 v0, v10, v0, s[2:3]
	v_alignbit_b32 v8, v9, v0, v51
	v_ffbh_u32_e32 v10, v54
	v_cndmask_b32_e64 v8, v8, v9, s[4:5]
	v_add_u32_e32 v10, 1, v10
	v_cmp_ne_u32_e32 vcc, v49, v53
	v_alignbit_b32 v9, v11, v8, 30
	v_cndmask_b32_e32 v10, 33, v10, vcc
	v_alignbit_b32 v0, v8, v0, 30
	v_xor_b32_e32 v9, v9, v53
	v_sub_u32_e32 v11, 32, v10
	v_xor_b32_e32 v0, v0, v53
	v_alignbit_b32 v48, v54, v9, v11
	v_alignbit_b32 v0, v9, v0, v11
	;; [unrolled: 1-line block ×3, first 2 shown]
	v_ffbh_u32_e32 v9, v8
	v_min_u32_e32 v9, 32, v9
	v_lshrrev_b32_e32 v50, 29, v17
	v_sub_u32_e32 v11, 31, v9
	v_alignbit_b32 v0, v8, v0, v11
	v_lshlrev_b32_e32 v8, 31, v50
	v_or_b32_e32 v11, 0x33800000, v8
	v_add_lshl_u32 v9, v9, v10, 23
	v_lshrrev_b32_e32 v0, 9, v0
	v_sub_u32_e32 v9, v11, v9
	v_or_b32_e32 v0, v9, v0
	v_alignbit_b32 v9, v10, v48, 9
	v_or_b32_e32 v8, v9, v8
	v_xor_b32_e32 v8, 1.0, v8
	v_mul_f32_e32 v9, 0x3fc90fda, v8
	v_fma_f32 v10, v8, s72, -v9
	v_fmac_f32_e32 v10, 0x33a22168, v8
	v_fmac_f32_e32 v10, 0x3fc90fda, v0
	v_lshrrev_b32_e32 v8, 30, v17
	v_add_f32_e32 v0, v9, v10
	v_add_u32_e32 v8, v52, v8
.LBB13_56:                              ;   in Loop: Header=BB13_9 Depth=1
	s_andn2_saveexec_b64 s[0:1], s[6:7]
	s_cbranch_execz .LBB13_7
; %bb.57:                               ;   in Loop: Header=BB13_9 Depth=1
	v_mul_f32_e64 v0, |v5|, s73
	v_rndne_f32_e32 v9, v0
	v_cvt_i32_f32_e32 v8, v9
	v_fma_f32 v0, v9, s74, |v5|
	v_fmac_f32_e32 v0, 0xb3a22168, v9
	v_fmac_f32_e32 v0, 0xa7c234c4, v9
	s_branch .LBB13_7
.LBB13_58:
	s_endpgm
.LBB13_59:
                                        ; implicit-def: $sgpr2_sgpr3
	s_andn2_b64 vcc, exec, s[0:1]
	s_cbranch_vccz .LBB13_4
	s_branch .LBB13_5
	.section	.rodata,"a",@progbits
	.p2align	6, 0x0
	.amdhsa_kernel _ZN2at6native12_GLOBAL__N_143distribution_elementwise_grid_stride_kernelIfLi4EZNS0_9templates4cuda21uniform_and_transformIN3c108BFloat16EfPNS_17CUDAGeneratorImplEZZZNS4_13cauchy_kernelIS9_EEvRNS_18TensorIteratorBaseEddT_ENKUlvE_clEvENKUlvE2_clEvEUlfE_EEvSC_T1_T2_EUlP25hiprandStatePhilox4_32_10E_ZNS1_27distribution_nullary_kernelIS7_f15HIP_vector_typeIdLj2EES9_SL_SG_EEvSC_SI_RKT3_T4_EUlifE0_EEvlNS_15PhiloxCudaStateESH_SI_
		.amdhsa_group_segment_fixed_size 0
		.amdhsa_private_segment_fixed_size 0
		.amdhsa_kernarg_size 584
		.amdhsa_user_sgpr_count 6
		.amdhsa_user_sgpr_private_segment_buffer 1
		.amdhsa_user_sgpr_dispatch_ptr 0
		.amdhsa_user_sgpr_queue_ptr 0
		.amdhsa_user_sgpr_kernarg_segment_ptr 1
		.amdhsa_user_sgpr_dispatch_id 0
		.amdhsa_user_sgpr_flat_scratch_init 0
		.amdhsa_user_sgpr_kernarg_preload_length 0
		.amdhsa_user_sgpr_kernarg_preload_offset 0
		.amdhsa_user_sgpr_private_segment_size 0
		.amdhsa_uses_dynamic_stack 0
		.amdhsa_system_sgpr_private_segment_wavefront_offset 0
		.amdhsa_system_sgpr_workgroup_id_x 1
		.amdhsa_system_sgpr_workgroup_id_y 0
		.amdhsa_system_sgpr_workgroup_id_z 0
		.amdhsa_system_sgpr_workgroup_info 0
		.amdhsa_system_vgpr_workitem_id 0
		.amdhsa_next_free_vgpr 62
		.amdhsa_next_free_sgpr 78
		.amdhsa_accum_offset 64
		.amdhsa_reserve_vcc 1
		.amdhsa_reserve_flat_scratch 0
		.amdhsa_float_round_mode_32 0
		.amdhsa_float_round_mode_16_64 0
		.amdhsa_float_denorm_mode_32 3
		.amdhsa_float_denorm_mode_16_64 3
		.amdhsa_dx10_clamp 1
		.amdhsa_ieee_mode 1
		.amdhsa_fp16_overflow 0
		.amdhsa_tg_split 0
		.amdhsa_exception_fp_ieee_invalid_op 0
		.amdhsa_exception_fp_denorm_src 0
		.amdhsa_exception_fp_ieee_div_zero 0
		.amdhsa_exception_fp_ieee_overflow 0
		.amdhsa_exception_fp_ieee_underflow 0
		.amdhsa_exception_fp_ieee_inexact 0
		.amdhsa_exception_int_div_zero 0
	.end_amdhsa_kernel
	.section	.text._ZN2at6native12_GLOBAL__N_143distribution_elementwise_grid_stride_kernelIfLi4EZNS0_9templates4cuda21uniform_and_transformIN3c108BFloat16EfPNS_17CUDAGeneratorImplEZZZNS4_13cauchy_kernelIS9_EEvRNS_18TensorIteratorBaseEddT_ENKUlvE_clEvENKUlvE2_clEvEUlfE_EEvSC_T1_T2_EUlP25hiprandStatePhilox4_32_10E_ZNS1_27distribution_nullary_kernelIS7_f15HIP_vector_typeIdLj2EES9_SL_SG_EEvSC_SI_RKT3_T4_EUlifE0_EEvlNS_15PhiloxCudaStateESH_SI_,"axG",@progbits,_ZN2at6native12_GLOBAL__N_143distribution_elementwise_grid_stride_kernelIfLi4EZNS0_9templates4cuda21uniform_and_transformIN3c108BFloat16EfPNS_17CUDAGeneratorImplEZZZNS4_13cauchy_kernelIS9_EEvRNS_18TensorIteratorBaseEddT_ENKUlvE_clEvENKUlvE2_clEvEUlfE_EEvSC_T1_T2_EUlP25hiprandStatePhilox4_32_10E_ZNS1_27distribution_nullary_kernelIS7_f15HIP_vector_typeIdLj2EES9_SL_SG_EEvSC_SI_RKT3_T4_EUlifE0_EEvlNS_15PhiloxCudaStateESH_SI_,comdat
.Lfunc_end13:
	.size	_ZN2at6native12_GLOBAL__N_143distribution_elementwise_grid_stride_kernelIfLi4EZNS0_9templates4cuda21uniform_and_transformIN3c108BFloat16EfPNS_17CUDAGeneratorImplEZZZNS4_13cauchy_kernelIS9_EEvRNS_18TensorIteratorBaseEddT_ENKUlvE_clEvENKUlvE2_clEvEUlfE_EEvSC_T1_T2_EUlP25hiprandStatePhilox4_32_10E_ZNS1_27distribution_nullary_kernelIS7_f15HIP_vector_typeIdLj2EES9_SL_SG_EEvSC_SI_RKT3_T4_EUlifE0_EEvlNS_15PhiloxCudaStateESH_SI_, .Lfunc_end13-_ZN2at6native12_GLOBAL__N_143distribution_elementwise_grid_stride_kernelIfLi4EZNS0_9templates4cuda21uniform_and_transformIN3c108BFloat16EfPNS_17CUDAGeneratorImplEZZZNS4_13cauchy_kernelIS9_EEvRNS_18TensorIteratorBaseEddT_ENKUlvE_clEvENKUlvE2_clEvEUlfE_EEvSC_T1_T2_EUlP25hiprandStatePhilox4_32_10E_ZNS1_27distribution_nullary_kernelIS7_f15HIP_vector_typeIdLj2EES9_SL_SG_EEvSC_SI_RKT3_T4_EUlifE0_EEvlNS_15PhiloxCudaStateESH_SI_
                                        ; -- End function
	.section	.AMDGPU.csdata,"",@progbits
; Kernel info:
; codeLenInByte = 5052
; NumSgprs: 82
; NumVgprs: 62
; NumAgprs: 0
; TotalNumVgprs: 62
; ScratchSize: 0
; MemoryBound: 0
; FloatMode: 240
; IeeeMode: 1
; LDSByteSize: 0 bytes/workgroup (compile time only)
; SGPRBlocks: 10
; VGPRBlocks: 7
; NumSGPRsForWavesPerEU: 82
; NumVGPRsForWavesPerEU: 62
; AccumOffset: 64
; Occupancy: 8
; WaveLimiterHint : 1
; COMPUTE_PGM_RSRC2:SCRATCH_EN: 0
; COMPUTE_PGM_RSRC2:USER_SGPR: 6
; COMPUTE_PGM_RSRC2:TRAP_HANDLER: 0
; COMPUTE_PGM_RSRC2:TGID_X_EN: 1
; COMPUTE_PGM_RSRC2:TGID_Y_EN: 0
; COMPUTE_PGM_RSRC2:TGID_Z_EN: 0
; COMPUTE_PGM_RSRC2:TIDIG_COMP_CNT: 0
; COMPUTE_PGM_RSRC3_GFX90A:ACCUM_OFFSET: 15
; COMPUTE_PGM_RSRC3_GFX90A:TG_SPLIT: 0
	.section	.text._ZN2at6native12_GLOBAL__N_143distribution_elementwise_grid_stride_kernelIfLi4EZNS0_9templates4cuda21uniform_and_transformIN3c108BFloat16EfPNS_17CUDAGeneratorImplEZZZNS4_13cauchy_kernelIS9_EEvRNS_18TensorIteratorBaseEddT_ENKUlvE_clEvENKUlvE2_clEvEUlfE_EEvSC_T1_T2_EUlP25hiprandStatePhilox4_32_10E0_ZNS1_27distribution_nullary_kernelIS7_f15HIP_vector_typeIfLj4EES9_SL_SG_EEvSC_SI_RKT3_T4_EUlifE_EEvlNS_15PhiloxCudaStateESH_SI_,"axG",@progbits,_ZN2at6native12_GLOBAL__N_143distribution_elementwise_grid_stride_kernelIfLi4EZNS0_9templates4cuda21uniform_and_transformIN3c108BFloat16EfPNS_17CUDAGeneratorImplEZZZNS4_13cauchy_kernelIS9_EEvRNS_18TensorIteratorBaseEddT_ENKUlvE_clEvENKUlvE2_clEvEUlfE_EEvSC_T1_T2_EUlP25hiprandStatePhilox4_32_10E0_ZNS1_27distribution_nullary_kernelIS7_f15HIP_vector_typeIfLj4EES9_SL_SG_EEvSC_SI_RKT3_T4_EUlifE_EEvlNS_15PhiloxCudaStateESH_SI_,comdat
	.globl	_ZN2at6native12_GLOBAL__N_143distribution_elementwise_grid_stride_kernelIfLi4EZNS0_9templates4cuda21uniform_and_transformIN3c108BFloat16EfPNS_17CUDAGeneratorImplEZZZNS4_13cauchy_kernelIS9_EEvRNS_18TensorIteratorBaseEddT_ENKUlvE_clEvENKUlvE2_clEvEUlfE_EEvSC_T1_T2_EUlP25hiprandStatePhilox4_32_10E0_ZNS1_27distribution_nullary_kernelIS7_f15HIP_vector_typeIfLj4EES9_SL_SG_EEvSC_SI_RKT3_T4_EUlifE_EEvlNS_15PhiloxCudaStateESH_SI_ ; -- Begin function _ZN2at6native12_GLOBAL__N_143distribution_elementwise_grid_stride_kernelIfLi4EZNS0_9templates4cuda21uniform_and_transformIN3c108BFloat16EfPNS_17CUDAGeneratorImplEZZZNS4_13cauchy_kernelIS9_EEvRNS_18TensorIteratorBaseEddT_ENKUlvE_clEvENKUlvE2_clEvEUlfE_EEvSC_T1_T2_EUlP25hiprandStatePhilox4_32_10E0_ZNS1_27distribution_nullary_kernelIS7_f15HIP_vector_typeIfLj4EES9_SL_SG_EEvSC_SI_RKT3_T4_EUlifE_EEvlNS_15PhiloxCudaStateESH_SI_
	.p2align	8
	.type	_ZN2at6native12_GLOBAL__N_143distribution_elementwise_grid_stride_kernelIfLi4EZNS0_9templates4cuda21uniform_and_transformIN3c108BFloat16EfPNS_17CUDAGeneratorImplEZZZNS4_13cauchy_kernelIS9_EEvRNS_18TensorIteratorBaseEddT_ENKUlvE_clEvENKUlvE2_clEvEUlfE_EEvSC_T1_T2_EUlP25hiprandStatePhilox4_32_10E0_ZNS1_27distribution_nullary_kernelIS7_f15HIP_vector_typeIfLj4EES9_SL_SG_EEvSC_SI_RKT3_T4_EUlifE_EEvlNS_15PhiloxCudaStateESH_SI_,@function
_ZN2at6native12_GLOBAL__N_143distribution_elementwise_grid_stride_kernelIfLi4EZNS0_9templates4cuda21uniform_and_transformIN3c108BFloat16EfPNS_17CUDAGeneratorImplEZZZNS4_13cauchy_kernelIS9_EEvRNS_18TensorIteratorBaseEddT_ENKUlvE_clEvENKUlvE2_clEvEUlfE_EEvSC_T1_T2_EUlP25hiprandStatePhilox4_32_10E0_ZNS1_27distribution_nullary_kernelIS7_f15HIP_vector_typeIfLj4EES9_SL_SG_EEvSC_SI_RKT3_T4_EUlifE_EEvlNS_15PhiloxCudaStateESH_SI_: ; @_ZN2at6native12_GLOBAL__N_143distribution_elementwise_grid_stride_kernelIfLi4EZNS0_9templates4cuda21uniform_and_transformIN3c108BFloat16EfPNS_17CUDAGeneratorImplEZZZNS4_13cauchy_kernelIS9_EEvRNS_18TensorIteratorBaseEddT_ENKUlvE_clEvENKUlvE2_clEvEUlfE_EEvSC_T1_T2_EUlP25hiprandStatePhilox4_32_10E0_ZNS1_27distribution_nullary_kernelIS7_f15HIP_vector_typeIfLj4EES9_SL_SG_EEvSC_SI_RKT3_T4_EUlifE_EEvlNS_15PhiloxCudaStateESH_SI_
; %bb.0:
	s_load_dword s2, s[4:5], 0x20
	s_load_dwordx2 s[0:1], s[4:5], 0x10
	s_load_dwordx4 s[8:11], s[4:5], 0x0
	s_waitcnt lgkmcnt(0)
	s_bitcmp0_b32 s2, 0
	s_mov_b32 s2, 0
	v_pk_mov_b32 v[2:3], s[0:1], s[0:1] op_sel:[0,1]
	v_pk_mov_b32 v[12:13], s[10:11], s[10:11] op_sel:[0,1]
	s_cbranch_scc1 .LBB14_2
; %bb.1:
	v_pk_mov_b32 v[2:3], s[0:1], s[0:1] op_sel:[0,1]
	flat_load_dwordx2 v[2:3], v[2:3]
	v_pk_mov_b32 v[4:5], s[10:11], s[10:11] op_sel:[0,1]
	flat_load_dwordx2 v[12:13], v[4:5]
	s_load_dwordx2 s[0:1], s[4:5], 0x18
	s_waitcnt lgkmcnt(0)
	v_mov_b32_e32 v1, s1
	s_waitcnt vmcnt(0)
	v_add_co_u32_e32 v2, vcc, s0, v2
	v_addc_co_u32_e32 v3, vcc, v3, v1, vcc
.LBB14_2:
	s_load_dword s0, s[4:5], 0x54
	s_load_dword s18, s[4:5], 0x48
	s_waitcnt lgkmcnt(0)
	s_and_b32 s7, s0, 0xffff
	s_add_u32 s10, s8, -1
	s_mul_i32 s22, s18, s7
	s_addc_u32 s3, s9, -1
	s_lshl_b32 s23, s22, 2
	s_cmp_lg_u64 s[2:3], 0
	s_mov_b64 s[0:1], -1
	s_cbranch_scc0 .LBB14_43
; %bb.3:
	v_cvt_f32_u32_e32 v1, s23
	v_cvt_f32_ubyte0_e32 v4, 0
	s_sub_u32 s2, 0, s23
	s_subb_u32 s11, 0, 0
	v_madmk_f32 v1, v4, 0x4f800000, v1
	v_rcp_f32_e32 v1, v1
	v_mul_f32_e32 v1, 0x5f7ffffc, v1
	v_mul_f32_e32 v4, 0x2f800000, v1
	v_trunc_f32_e32 v4, v4
	v_madmk_f32 v1, v4, 0xcf800000, v1
	v_cvt_u32_f32_e32 v4, v4
	v_cvt_u32_f32_e32 v1, v1
	v_readfirstlane_b32 s12, v4
	v_readfirstlane_b32 s13, v1
	s_mul_i32 s14, s2, s12
	s_mul_hi_u32 s16, s2, s13
	s_mul_i32 s15, s11, s13
	s_add_i32 s14, s16, s14
	s_add_i32 s14, s14, s15
	s_mul_i32 s17, s2, s13
	s_mul_hi_u32 s15, s13, s14
	s_mul_i32 s16, s13, s14
	s_mul_hi_u32 s13, s13, s17
	s_add_u32 s13, s13, s16
	s_addc_u32 s15, 0, s15
	s_mul_hi_u32 s19, s12, s17
	s_mul_i32 s17, s12, s17
	s_add_u32 s13, s13, s17
	s_mul_hi_u32 s16, s12, s14
	s_addc_u32 s13, s15, s19
	s_addc_u32 s15, s16, 0
	s_mul_i32 s14, s12, s14
	s_add_u32 s13, s13, s14
	s_addc_u32 s14, 0, s15
	v_add_co_u32_e32 v1, vcc, s13, v1
	s_cmp_lg_u64 vcc, 0
	s_addc_u32 s12, s12, s14
	v_readfirstlane_b32 s14, v1
	s_mul_i32 s13, s2, s12
	s_mul_hi_u32 s15, s2, s14
	s_add_i32 s13, s15, s13
	s_mul_i32 s11, s11, s14
	s_add_i32 s13, s13, s11
	s_mul_i32 s2, s2, s14
	s_mul_hi_u32 s15, s12, s2
	s_mul_i32 s16, s12, s2
	s_mul_i32 s19, s14, s13
	s_mul_hi_u32 s2, s14, s2
	s_mul_hi_u32 s17, s14, s13
	s_add_u32 s2, s2, s19
	s_addc_u32 s14, 0, s17
	s_add_u32 s2, s2, s16
	s_mul_hi_u32 s11, s12, s13
	s_addc_u32 s2, s14, s15
	s_addc_u32 s11, s11, 0
	s_mul_i32 s13, s12, s13
	s_add_u32 s2, s2, s13
	s_addc_u32 s11, 0, s11
	v_add_co_u32_e32 v1, vcc, s2, v1
	s_cmp_lg_u64 vcc, 0
	s_addc_u32 s11, s12, s11
	s_ashr_i32 s12, s3, 31
	s_add_u32 s2, s10, s12
	s_mov_b32 s13, s12
	s_addc_u32 s3, s3, s12
	s_xor_b64 s[2:3], s[2:3], s[12:13]
	v_readfirstlane_b32 s16, v1
	s_mul_i32 s15, s2, s11
	s_mul_hi_u32 s17, s2, s16
	s_mul_hi_u32 s14, s2, s11
	s_add_u32 s15, s17, s15
	s_addc_u32 s14, 0, s14
	s_mul_hi_u32 s19, s3, s16
	s_mul_i32 s16, s3, s16
	s_add_u32 s15, s15, s16
	s_mul_hi_u32 s17, s3, s11
	s_addc_u32 s14, s14, s19
	s_addc_u32 s15, s17, 0
	s_mul_i32 s11, s3, s11
	s_add_u32 s11, s14, s11
	s_addc_u32 s14, 0, s15
	s_add_u32 s15, s11, 1
	s_addc_u32 s16, s14, 0
	s_add_u32 s17, s11, 2
	s_mul_i32 s20, s23, s14
	s_mul_hi_u32 s21, s23, s11
	s_addc_u32 s19, s14, 0
	s_add_i32 s21, s21, s20
	s_mul_i32 s20, s23, s11
	v_mov_b32_e32 v1, s20
	v_sub_co_u32_e32 v1, vcc, s2, v1
	s_cmp_lg_u64 vcc, 0
	s_subb_u32 s2, s3, s21
	v_subrev_co_u32_e32 v4, vcc, s23, v1
	s_cmp_lg_u64 vcc, 0
	s_subb_u32 s3, s2, 0
	v_readfirstlane_b32 s20, v4
	s_cmp_ge_u32 s20, s23
	s_cselect_b32 s20, -1, 0
	s_cmp_eq_u32 s3, 0
	s_cselect_b32 s3, s20, -1
	s_cmp_lg_u32 s3, 0
	s_cselect_b32 s3, s19, s16
	v_readfirstlane_b32 s16, v1
	s_cselect_b32 s15, s17, s15
	s_cmp_ge_u32 s16, s23
	s_cselect_b32 s16, -1, 0
	s_cmp_eq_u32 s2, 0
	s_cselect_b32 s2, s16, -1
	s_cmp_lg_u32 s2, 0
	s_cselect_b32 s3, s3, s14
	s_cselect_b32 s2, s15, s11
	s_xor_b64 s[2:3], s[2:3], s[12:13]
	s_sub_u32 s2, s2, s12
	s_subb_u32 s3, s3, s12
	s_cbranch_execnz .LBB14_5
.LBB14_4:
	v_cvt_f32_u32_e32 v1, s23
	s_sub_i32 s0, 0, s23
	s_mov_b32 s3, 0
	v_rcp_iflag_f32_e32 v1, v1
	v_mul_f32_e32 v1, 0x4f7ffffe, v1
	v_cvt_u32_f32_e32 v1, v1
	v_readfirstlane_b32 s1, v1
	s_mul_i32 s0, s0, s1
	s_mul_hi_u32 s0, s1, s0
	s_add_i32 s1, s1, s0
	s_mul_hi_u32 s0, s10, s1
	s_mul_i32 s2, s0, s23
	s_sub_i32 s2, s10, s2
	s_add_i32 s1, s0, 1
	s_sub_i32 s10, s2, s23
	s_cmp_ge_u32 s2, s23
	s_cselect_b32 s0, s1, s0
	s_cselect_b32 s2, s10, s2
	s_add_i32 s1, s0, 1
	s_cmp_ge_u32 s2, s23
	s_cselect_b32 s2, s1, s0
.LBB14_5:
	v_mov_b32_e32 v1, 0
	v_mov_b32_e32 v4, s6
	v_mad_u64_u32 v[14:15], s[0:1], s7, v4, v[0:1]
	s_add_u32 s0, s2, 1
	s_addc_u32 s1, s3, 0
	s_mul_hi_u32 s2, s18, s7
	s_mul_i32 s1, s22, s1
	s_mul_hi_u32 s3, s22, s0
	s_add_i32 s1, s3, s1
	s_mul_i32 s2, s2, s0
	s_add_i32 s1, s1, s2
	s_mul_i32 s0, s22, s0
	s_lshl_b64 s[10:11], s[0:1], 2
	v_cmp_gt_i64_e32 vcc, s[10:11], v[14:15]
	s_and_saveexec_b64 s[0:1], vcc
	s_cbranch_execz .LBB14_42
; %bb.6:
	s_mov_b32 s0, 0x5384540f
	v_mov_b32_e32 v4, v13
	v_add_co_u32_e32 v22, vcc, s0, v12
	s_mov_b32 s0, 0x646e171e
	v_add_co_u32_e32 v23, vcc, s0, v4
	s_mov_b32 s0, 0x1715609d
	;; [unrolled: 2-line block ×6, first 2 shown]
	v_alignbit_b32 v29, v3, v2, 2
	s_mov_b32 s24, 0xd2511f53
	v_add_co_u32_e32 v28, vcc, s0, v12
	v_mad_u64_u32 v[6:7], s[0:1], v29, s24, 0
	v_and_b32_e32 v18, 3, v2
	v_xor_b32_e32 v2, v7, v13
	v_xor_b32_e32 v2, v2, v15
	s_mov_b32 s25, 0xcd9e8d57
	v_mad_u64_u32 v[8:9], s[0:1], v2, s25, 0
	v_xor_b32_e32 v2, v28, v9
	v_mad_u64_u32 v[10:11], s[0:1], v14, s25, 0
	v_xor_b32_e32 v2, v2, v10
	;; [unrolled: 2-line block ×3, first 2 shown]
	v_lshrrev_b32_e32 v30, 2, v3
	v_xor_b32_e32 v2, v2, v30
	v_xor_b32_e32 v5, v27, v17
	v_mad_u64_u32 v[2:3], s[0:1], v2, s24, 0
	v_xor_b32_e32 v2, v5, v2
	v_mad_u64_u32 v[10:11], s[0:1], v2, s25, 0
	s_mov_b32 s0, 0xbb67ae85
	v_add_co_u32_e32 v31, vcc, s0, v4
	v_xor_b32_e32 v2, v31, v3
	v_xor_b32_e32 v2, v2, v6
	v_xor_b32_e32 v5, v26, v11
	v_mad_u64_u32 v[2:3], s[0:1], v2, s25, 0
	v_xor_b32_e32 v2, v5, v2
	v_mad_u64_u32 v[6:7], s[0:1], v2, s24, 0
	s_mov_b32 s0, 0x3c6ef372
	v_add_co_u32_e32 v32, vcc, s0, v12
	v_xor_b32_e32 v2, v32, v3
	;; [unrolled: 8-line block ×6, first 2 shown]
	v_add_co_u32_e32 v21, vcc, 0xdb3d7428, v4
	v_xor_b32_e32 v2, v2, v8
	v_xor_b32_e32 v5, v21, v41
	v_mad_u64_u32 v[2:3], s[0:1], v2, s24, 0
	v_xor_b32_e32 v2, v5, v2
	v_mad_u64_u32 v[42:43], s[0:1], v2, s25, 0
	s_mov_b32 s0, 0x1fd5c5a3
	v_add_co_u32_e32 v37, vcc, s0, v4
	v_xor_b32_e32 v2, v37, v3
	v_xor_b32_e32 v2, v2, v16
	v_mad_u64_u32 v[2:3], s[0:1], v2, s25, 0
	s_mov_b32 s0, 0xf1bbcdc8
	v_add_u32_e32 v19, 0x8ff34781, v12
	v_xor_b32_e32 v2, v43, v2
	v_add_co_u32_e32 v38, vcc, s0, v12
	s_load_dwordx4 s[12:15], s[4:5], 0x38
	s_load_dwordx2 s[16:17], s[4:5], 0x30
	v_xor_b32_e32 v6, v19, v2
	v_xor_b32_e32 v2, v38, v3
	;; [unrolled: 1-line block ×3, first 2 shown]
	v_mad_u64_u32 v[2:3], s[0:1], v2, s24, 0
	s_mul_i32 s0, s6, s7
	v_mov_b32_e32 v9, v2
	v_add_u32_e32 v2, s0, v0
	s_waitcnt lgkmcnt(0)
	s_mul_i32 s0, s18, s12
	s_mul_i32 s0, s0, s7
	s_lshl_b32 s30, s0, 2
	s_mul_i32 s0, s18, 3
	s_add_i32 s0, s6, s0
	s_mul_i32 s0, s0, s7
	v_mul_lo_u32 v39, s12, v2
	v_add_u32_e32 v2, s0, v0
	s_lshl_b32 s0, s18, 1
	s_add_i32 s0, s6, s0
	s_mul_i32 s0, s0, s7
	v_xor_b32_e32 v3, v3, v40
	v_mul_lo_u32 v40, s12, v2
	v_add_u32_e32 v2, s0, v0
	s_add_i32 s0, s6, s18
	s_mul_i32 s0, s0, s7
	s_mov_b32 s15, 0
	v_add_u32_e32 v20, 0x96a522ad, v13
	v_add_u32_e32 v0, s0, v0
	v_xor_b32_e32 v8, v20, v3
	v_mov_b32_e32 v7, v42
	s_lshl_b32 s26, s22, 1
	s_mov_b32 s27, s15
	s_mul_i32 s28, s22, 3
	s_mov_b32 s29, s15
	v_mul_lo_u32 v41, s12, v2
	v_mul_lo_u32 v42, s12, v0
	s_mov_b64 s[6:7], 0
	s_mov_b32 s12, 0x3f7ffffe
	s_brev_b32 s31, 44
	s_brev_b32 s33, 18
	s_mov_b32 s34, 0xfe5163ab
	s_mov_b32 s35, 0x3c439041
	;; [unrolled: 1-line block ×10, first 2 shown]
	v_mov_b32_e32 v43, 0x3f93f425
	s_movk_i32 s44, 0x1f8
	s_movk_i32 s45, 0x7fff
	v_mov_b32_e32 v44, 0x3f7ffffe
	v_bfrev_b32_e32 v45, 44
	v_not_b32_e32 v46, 63
	v_not_b32_e32 v47, 31
	v_mov_b32_e32 v48, 0x7fc00000
	v_mov_b32_e32 v49, 0x7fc0
	s_mov_b32 s46, s15
	v_mov_b32_e32 v50, v14
	v_mov_b32_e32 v51, v15
	s_branch .LBB14_9
.LBB14_7:                               ;   in Loop: Header=BB14_9 Depth=1
	s_or_b64 exec, exec, s[0:1]
	v_mul_f32_e32 v11, v0, v0
	v_mov_b32_e32 v17, 0xbf039337
	v_fmac_f32_e32 v17, 0x3c971480, v11
	v_fma_f32 v17, v11, v17, v43
	v_add_u32_e32 v8, s46, v40
	v_rcp_f32_e32 v17, v17
	v_ashrrev_i32_e32 v9, 31, v8
	v_mov_b32_e32 v10, s17
	v_add_co_u32_e32 v8, vcc, s16, v8
	v_addc_co_u32_e32 v9, vcc, v10, v9, vcc
	v_mov_b32_e32 v10, 0x3ec54587
	v_fmac_f32_e32 v10, 0xbc8cedd3, v11
	v_mul_f32_e32 v10, v10, v17
	v_mul_f32_e32 v10, v11, v10
	v_fma_f32 v11, v10, v0, v0
	v_rcp_f32_e32 v17, v11
	v_sub_f32_e32 v52, v11, v0
	v_fma_f32 v0, v10, v0, -v52
	v_and_b32_e32 v7, 1, v7
	v_fma_f32 v10, v11, -v17, 1.0
	v_fma_f32 v0, v0, -v17, v10
	v_fma_f32 v0, v0, -v17, -v17
	v_cmp_eq_u32_e32 vcc, 0, v7
	v_cndmask_b32_e32 v0, v0, v11, vcc
	v_xor_b32_e32 v6, v6, v5
	v_xor_b32_e32 v0, v6, v0
	v_cmp_class_f32_e64 vcc, v5, s44
	v_cndmask_b32_e32 v0, v48, v0, vcc
	v_mov_b32_e32 v5, s13
	v_fma_f32 v0, s14, v0, v5
	v_bfe_u32 v5, v0, 16, 1
	v_add3_u32 v5, v0, v5, s45
	v_lshrrev_b32_e32 v5, 16, v5
	v_cmp_o_f32_e32 vcc, v0, v0
	v_cndmask_b32_e32 v0, v49, v5, vcc
	global_store_short v[8:9], v0, off
.LBB14_8:                               ;   in Loop: Header=BB14_9 Depth=1
	s_or_b64 exec, exec, s[18:19]
	v_add_co_u32_e32 v14, vcc, s23, v14
	v_mov_b32_e32 v5, v16
	v_addc_co_u32_e32 v15, vcc, 0, v15, vcc
	s_add_i32 s46, s46, s30
	v_cmp_le_i64_e32 vcc, s[10:11], v[14:15]
	v_pk_mov_b32 v[8:9], v[4:5], v[4:5] op_sel:[0,1]
	s_or_b64 s[6:7], vcc, s[6:7]
	v_pk_mov_b32 v[6:7], v[2:3], v[2:3] op_sel:[0,1]
	s_barrier
	s_andn2_b64 exec, exec, s[6:7]
	s_cbranch_execz .LBB14_42
.LBB14_9:                               ; =>This Inner Loop Header: Depth=1
	v_add_co_u32_e32 v29, vcc, 1, v29
	v_cndmask_b32_e64 v0, 0, 1, vcc
	v_addc_co_u32_e32 v30, vcc, 0, v30, vcc
	v_cmp_eq_u32_e32 vcc, 0, v30
	v_cndmask_b32_e32 v0, 0, v0, vcc
	v_add_u32_e32 v50, v0, v50
	v_cmp_eq_u32_e32 vcc, 0, v50
	v_cndmask_b32_e32 v0, 0, v0, vcc
	v_mad_u64_u32 v[2:3], s[0:1], v29, s24, 0
	v_mad_u64_u32 v[4:5], s[0:1], v50, s25, 0
	v_add_u32_e32 v51, v0, v51
	v_xor_b32_e32 v0, v5, v12
	v_xor_b32_e32 v3, v3, v13
	v_xor_b32_e32 v0, v30, v0
	v_xor_b32_e32 v3, v51, v3
	v_mad_u64_u32 v[10:11], s[0:1], v0, s24, 0
	v_mad_u64_u32 v[16:17], s[0:1], v3, s25, 0
	v_xor_b32_e32 v0, v28, v17
	v_xor_b32_e32 v3, v31, v11
	v_xor_b32_e32 v0, v0, v4
	v_xor_b32_e32 v4, v3, v2
	v_mad_u64_u32 v[2:3], s[0:1], v0, s24, 0
	v_mad_u64_u32 v[4:5], s[0:1], v4, s25, 0
	;; [unrolled: 6-line block ×9, first 2 shown]
	v_xor_b32_e32 v0, v11, v2
	v_xor_b32_e32 v2, v19, v0
	;; [unrolled: 1-line block ×4, first 2 shown]
	v_mov_b32_e32 v3, v10
	v_mov_b32_e32 v4, v11
	v_cmp_lt_i32_e32 vcc, 1, v18
	s_and_saveexec_b64 s[0:1], vcc
	s_xor_b64 s[0:1], exec, s[0:1]
	s_cbranch_execnz .LBB14_12
; %bb.10:                               ;   in Loop: Header=BB14_9 Depth=1
	s_andn2_saveexec_b64 s[0:1], s[0:1]
	s_cbranch_execnz .LBB14_17
.LBB14_11:                              ;   in Loop: Header=BB14_9 Depth=1
	s_or_b64 exec, exec, s[0:1]
	v_cmp_gt_i64_e32 vcc, s[8:9], v[14:15]
	s_and_saveexec_b64 s[18:19], vcc
	s_cbranch_execnz .LBB14_20
	s_branch .LBB14_25
.LBB14_12:                              ;   in Loop: Header=BB14_9 Depth=1
	v_cmp_lt_i32_e32 vcc, 2, v18
	s_and_saveexec_b64 s[2:3], vcc
	s_xor_b64 s[2:3], exec, s[2:3]
; %bb.13:                               ;   in Loop: Header=BB14_9 Depth=1
	v_mov_b32_e32 v8, v9
	v_mov_b32_e32 v9, v2
	v_pk_mov_b32 v[6:7], v[8:9], v[8:9] op_sel:[0,1]
	v_pk_mov_b32 v[8:9], v[10:11], v[10:11] op_sel:[0,1]
                                        ; implicit-def: $vgpr10_vgpr11
; %bb.14:                               ;   in Loop: Header=BB14_9 Depth=1
	s_andn2_saveexec_b64 s[2:3], s[2:3]
; %bb.15:                               ;   in Loop: Header=BB14_9 Depth=1
	v_mov_b32_e32 v6, v8
	v_mov_b32_e32 v7, v9
	;; [unrolled: 1-line block ×4, first 2 shown]
; %bb.16:                               ;   in Loop: Header=BB14_9 Depth=1
	s_or_b64 exec, exec, s[2:3]
	s_andn2_saveexec_b64 s[0:1], s[0:1]
	s_cbranch_execz .LBB14_11
.LBB14_17:                              ;   in Loop: Header=BB14_9 Depth=1
	v_cmp_eq_u32_e32 vcc, 1, v18
	s_and_saveexec_b64 s[2:3], vcc
; %bb.18:                               ;   in Loop: Header=BB14_9 Depth=1
	v_mov_b32_e32 v6, v7
	v_mov_b32_e32 v7, v8
	;; [unrolled: 1-line block ×4, first 2 shown]
; %bb.19:                               ;   in Loop: Header=BB14_9 Depth=1
	s_or_b64 exec, exec, s[2:3]
	s_or_b64 exec, exec, s[0:1]
	v_cmp_gt_i64_e32 vcc, s[8:9], v[14:15]
	s_and_saveexec_b64 s[18:19], vcc
	s_cbranch_execz .LBB14_25
.LBB14_20:                              ;   in Loop: Header=BB14_9 Depth=1
	v_cvt_f32_u32_e32 v0, v6
	v_mov_b32_e32 v5, 0x2f800000
                                        ; implicit-def: $vgpr10
	v_fmac_f32_e32 v5, 0x2f800000, v0
	v_cmp_nlt_f32_e32 vcc, s12, v5
	v_cndmask_b32_e32 v0, v44, v5, vcc
	v_cmp_ngt_f32_e32 vcc, s31, v0
	v_cndmask_b32_e32 v0, v45, v0, vcc
	v_add_f32_e32 v0, -0.5, v0
	v_mul_f32_e32 v5, 0x40490fdb, v0
	v_and_b32_e32 v6, 0x7fffffff, v5
	v_cmp_nlt_f32_e64 s[0:1], |v5|, s33
                                        ; implicit-def: $vgpr0
	s_and_saveexec_b64 s[2:3], s[0:1]
	s_xor_b64 s[20:21], exec, s[2:3]
	s_cbranch_execz .LBB14_22
; %bb.21:                               ;   in Loop: Header=BB14_9 Depth=1
	v_lshrrev_b32_e32 v0, 23, v6
	v_add_u32_e32 v0, 0xffffff88, v0
	v_cmp_lt_u32_e32 vcc, 63, v0
	v_cndmask_b32_e32 v10, 0, v46, vcc
	v_add_u32_e32 v0, v10, v0
	v_cmp_lt_u32_e64 s[0:1], 31, v0
	v_cndmask_b32_e64 v10, 0, v47, s[0:1]
	v_add_u32_e32 v0, v10, v0
	v_cmp_lt_u32_e64 s[2:3], 31, v0
	v_cndmask_b32_e64 v10, 0, v47, s[2:3]
	v_add_u32_e32 v17, v10, v0
	v_and_b32_e32 v0, 0x7fffff, v6
	v_or_b32_e32 v62, 0x800000, v0
	v_mad_u64_u32 v[10:11], s[4:5], v62, s34, 0
	v_mov_b32_e32 v0, v11
	v_mad_u64_u32 v[52:53], s[4:5], v62, s35, v[0:1]
	v_mov_b32_e32 v0, v53
	;; [unrolled: 2-line block ×6, first 2 shown]
	v_mad_u64_u32 v[62:63], s[4:5], v62, s40, v[0:1]
	v_cndmask_b32_e32 v11, v60, v56, vcc
	v_cndmask_b32_e32 v0, v62, v58, vcc
	;; [unrolled: 1-line block ×3, first 2 shown]
	v_cndmask_b32_e64 v53, v0, v11, s[0:1]
	v_cndmask_b32_e64 v0, v55, v0, s[0:1]
	v_cndmask_b32_e32 v55, v58, v54, vcc
	v_cndmask_b32_e64 v11, v11, v55, s[0:1]
	v_cndmask_b32_e64 v0, v0, v53, s[2:3]
	v_cndmask_b32_e64 v53, v53, v11, s[2:3]
	v_sub_u32_e32 v57, 32, v17
	v_alignbit_b32 v58, v0, v53, v57
	v_cmp_eq_u32_e64 s[4:5], 0, v17
	v_cndmask_b32_e64 v17, v58, v0, s[4:5]
	v_cndmask_b32_e32 v0, v56, v52, vcc
	v_cndmask_b32_e64 v52, v55, v0, s[0:1]
	v_cndmask_b32_e64 v11, v11, v52, s[2:3]
	v_alignbit_b32 v55, v53, v11, v57
	v_cndmask_b32_e64 v53, v55, v53, s[4:5]
	v_bfe_u32 v58, v17, 29, 1
	v_cndmask_b32_e32 v10, v54, v10, vcc
	v_alignbit_b32 v55, v17, v53, 30
	v_sub_u32_e32 v59, 0, v58
	v_cndmask_b32_e64 v0, v0, v10, s[0:1]
	v_xor_b32_e32 v60, v55, v59
	v_cndmask_b32_e64 v0, v52, v0, s[2:3]
	v_alignbit_b32 v10, v11, v0, v57
	v_ffbh_u32_e32 v52, v60
	v_cndmask_b32_e64 v10, v10, v11, s[4:5]
	v_add_u32_e32 v52, 1, v52
	v_cmp_ne_u32_e32 vcc, v55, v59
	v_alignbit_b32 v11, v53, v10, 30
	v_cndmask_b32_e32 v52, 33, v52, vcc
	v_alignbit_b32 v0, v10, v0, 30
	v_xor_b32_e32 v11, v11, v59
	v_sub_u32_e32 v53, 32, v52
	v_xor_b32_e32 v0, v0, v59
	v_alignbit_b32 v54, v60, v11, v53
	v_alignbit_b32 v0, v11, v0, v53
	;; [unrolled: 1-line block ×3, first 2 shown]
	v_ffbh_u32_e32 v11, v10
	v_min_u32_e32 v11, 32, v11
	v_lshrrev_b32_e32 v56, 29, v17
	v_sub_u32_e32 v53, 31, v11
	v_alignbit_b32 v0, v10, v0, v53
	v_lshlrev_b32_e32 v10, 31, v56
	v_or_b32_e32 v53, 0x33800000, v10
	v_add_lshl_u32 v11, v11, v52, 23
	v_lshrrev_b32_e32 v0, 9, v0
	v_sub_u32_e32 v11, v53, v11
	v_or_b32_e32 v0, v11, v0
	v_alignbit_b32 v11, v52, v54, 9
	v_or_b32_e32 v10, v11, v10
	v_xor_b32_e32 v10, 1.0, v10
	v_mul_f32_e32 v11, 0x3fc90fda, v10
	v_fma_f32 v52, v10, s41, -v11
	v_fmac_f32_e32 v52, 0x33a22168, v10
	v_fmac_f32_e32 v52, 0x3fc90fda, v0
	v_lshrrev_b32_e32 v10, 30, v17
	v_add_f32_e32 v0, v11, v52
	v_add_u32_e32 v10, v58, v10
.LBB14_22:                              ;   in Loop: Header=BB14_9 Depth=1
	s_andn2_saveexec_b64 s[0:1], s[20:21]
; %bb.23:                               ;   in Loop: Header=BB14_9 Depth=1
	v_mul_f32_e64 v0, |v5|, s42
	v_rndne_f32_e32 v11, v0
	v_cvt_i32_f32_e32 v10, v11
	v_fma_f32 v0, v11, s43, |v5|
	v_fmac_f32_e32 v0, 0xb3a22168, v11
	v_fmac_f32_e32 v0, 0xa7c234c4, v11
; %bb.24:                               ;   in Loop: Header=BB14_9 Depth=1
	s_or_b64 exec, exec, s[0:1]
	v_mul_f32_e32 v54, v0, v0
	v_mov_b32_e32 v52, 0xbf039337
	v_fmac_f32_e32 v52, 0x3c971480, v54
	v_fma_f32 v52, v54, v52, v43
	v_rcp_f32_e32 v55, v52
	v_add_u32_e32 v11, s46, v39
	v_ashrrev_i32_e32 v17, 31, v11
	v_add_co_u32_e32 v52, vcc, s16, v11
	v_mov_b32_e32 v11, 0x3ec54587
	v_fmac_f32_e32 v11, 0xbc8cedd3, v54
	v_mul_f32_e32 v11, v11, v55
	v_mov_b32_e32 v53, s17
	v_mul_f32_e32 v11, v54, v11
	v_addc_co_u32_e32 v53, vcc, v53, v17, vcc
	v_fma_f32 v17, v11, v0, v0
	v_rcp_f32_e32 v54, v17
	v_sub_f32_e32 v55, v17, v0
	v_fma_f32 v0, v11, v0, -v55
	v_and_b32_e32 v10, 1, v10
	v_fma_f32 v11, v17, -v54, 1.0
	v_fma_f32 v0, v0, -v54, v11
	v_fma_f32 v0, v0, -v54, -v54
	v_cmp_eq_u32_e32 vcc, 0, v10
	v_cndmask_b32_e32 v0, v0, v17, vcc
	v_xor_b32_e32 v6, v6, v5
	v_xor_b32_e32 v0, v6, v0
	v_cmp_class_f32_e64 vcc, v5, s44
	v_cndmask_b32_e32 v0, v48, v0, vcc
	v_mov_b32_e32 v5, s13
	v_fma_f32 v0, s14, v0, v5
	v_bfe_u32 v5, v0, 16, 1
	v_add3_u32 v5, v0, v5, s45
	v_lshrrev_b32_e32 v5, 16, v5
	v_cmp_o_f32_e32 vcc, v0, v0
	v_cndmask_b32_e32 v0, v49, v5, vcc
	global_store_short v[52:53], v0, off
.LBB14_25:                              ;   in Loop: Header=BB14_9 Depth=1
	s_or_b64 exec, exec, s[18:19]
	v_mov_b32_e32 v0, s15
	v_add_co_u32_e32 v10, vcc, s22, v14
	v_addc_co_u32_e32 v11, vcc, v0, v15, vcc
	v_cmp_gt_i64_e32 vcc, s[8:9], v[10:11]
	s_and_saveexec_b64 s[18:19], vcc
	s_cbranch_execz .LBB14_31
; %bb.26:                               ;   in Loop: Header=BB14_9 Depth=1
	v_cvt_f32_u32_e32 v0, v7
	v_mov_b32_e32 v5, 0x2f800000
                                        ; implicit-def: $vgpr7
	v_fmac_f32_e32 v5, 0x2f800000, v0
	v_cmp_nlt_f32_e32 vcc, s12, v5
	v_cndmask_b32_e32 v0, v44, v5, vcc
	v_cmp_ngt_f32_e32 vcc, s31, v0
	v_cndmask_b32_e32 v0, v45, v0, vcc
	v_add_f32_e32 v0, -0.5, v0
	v_mul_f32_e32 v5, 0x40490fdb, v0
	v_and_b32_e32 v6, 0x7fffffff, v5
	v_cmp_nlt_f32_e64 s[0:1], |v5|, s33
                                        ; implicit-def: $vgpr0
	s_and_saveexec_b64 s[2:3], s[0:1]
	s_xor_b64 s[20:21], exec, s[2:3]
	s_cbranch_execz .LBB14_28
; %bb.27:                               ;   in Loop: Header=BB14_9 Depth=1
	v_lshrrev_b32_e32 v0, 23, v6
	v_add_u32_e32 v0, 0xffffff88, v0
	v_cmp_lt_u32_e32 vcc, 63, v0
	v_cndmask_b32_e32 v7, 0, v46, vcc
	v_add_u32_e32 v0, v7, v0
	v_cmp_lt_u32_e64 s[0:1], 31, v0
	v_cndmask_b32_e64 v7, 0, v47, s[0:1]
	v_add_u32_e32 v0, v7, v0
	v_cmp_lt_u32_e64 s[2:3], 31, v0
	v_cndmask_b32_e64 v7, 0, v47, s[2:3]
	v_add_u32_e32 v7, v7, v0
	v_and_b32_e32 v0, 0x7fffff, v6
	v_or_b32_e32 v17, 0x800000, v0
	v_mad_u64_u32 v[10:11], s[4:5], v17, s34, 0
	v_mov_b32_e32 v0, v11
	v_mad_u64_u32 v[52:53], s[4:5], v17, s35, v[0:1]
	v_mov_b32_e32 v0, v53
	v_mad_u64_u32 v[54:55], s[4:5], v17, s36, v[0:1]
	v_mov_b32_e32 v0, v55
	v_mad_u64_u32 v[56:57], s[4:5], v17, s37, v[0:1]
	v_mov_b32_e32 v0, v57
	v_mad_u64_u32 v[58:59], s[4:5], v17, s38, v[0:1]
	v_mov_b32_e32 v0, v59
	v_mad_u64_u32 v[60:61], s[4:5], v17, s39, v[0:1]
	v_mov_b32_e32 v0, v61
	v_mad_u64_u32 v[62:63], s[4:5], v17, s40, v[0:1]
	v_cndmask_b32_e32 v11, v60, v56, vcc
	v_cndmask_b32_e32 v0, v62, v58, vcc
	;; [unrolled: 1-line block ×3, first 2 shown]
	v_cndmask_b32_e64 v17, v0, v11, s[0:1]
	v_cndmask_b32_e64 v0, v53, v0, s[0:1]
	v_cndmask_b32_e32 v53, v58, v54, vcc
	v_cndmask_b32_e64 v11, v11, v53, s[0:1]
	v_cndmask_b32_e64 v0, v0, v17, s[2:3]
	;; [unrolled: 1-line block ×3, first 2 shown]
	v_sub_u32_e32 v55, 32, v7
	v_alignbit_b32 v57, v0, v17, v55
	v_cmp_eq_u32_e64 s[4:5], 0, v7
	v_cndmask_b32_e64 v7, v57, v0, s[4:5]
	v_cndmask_b32_e32 v0, v56, v52, vcc
	v_cndmask_b32_e64 v52, v53, v0, s[0:1]
	v_cndmask_b32_e64 v11, v11, v52, s[2:3]
	v_cndmask_b32_e32 v10, v54, v10, vcc
	v_alignbit_b32 v53, v17, v11, v55
	v_cndmask_b32_e64 v0, v0, v10, s[0:1]
	v_cndmask_b32_e64 v17, v53, v17, s[4:5]
	v_bfe_u32 v57, v7, 29, 1
	v_cndmask_b32_e64 v0, v52, v0, s[2:3]
	v_alignbit_b32 v53, v7, v17, 30
	v_sub_u32_e32 v58, 0, v57
	v_alignbit_b32 v10, v11, v0, v55
	v_xor_b32_e32 v59, v53, v58
	v_cndmask_b32_e64 v10, v10, v11, s[4:5]
	v_alignbit_b32 v11, v17, v10, 30
	v_ffbh_u32_e32 v17, v59
	v_add_u32_e32 v17, 1, v17
	v_cmp_ne_u32_e32 vcc, v53, v58
	v_cndmask_b32_e32 v17, 33, v17, vcc
	v_alignbit_b32 v0, v10, v0, 30
	v_xor_b32_e32 v11, v11, v58
	v_sub_u32_e32 v52, 32, v17
	v_xor_b32_e32 v0, v0, v58
	v_alignbit_b32 v53, v59, v11, v52
	v_alignbit_b32 v0, v11, v0, v52
	;; [unrolled: 1-line block ×3, first 2 shown]
	v_ffbh_u32_e32 v11, v10
	v_min_u32_e32 v11, 32, v11
	v_lshrrev_b32_e32 v56, 29, v7
	v_sub_u32_e32 v52, 31, v11
	v_alignbit_b32 v0, v10, v0, v52
	v_lshlrev_b32_e32 v10, 31, v56
	v_or_b32_e32 v52, 0x33800000, v10
	v_add_lshl_u32 v11, v11, v17, 23
	v_lshrrev_b32_e32 v0, 9, v0
	v_sub_u32_e32 v11, v52, v11
	v_or_b32_e32 v0, v11, v0
	v_alignbit_b32 v11, v17, v53, 9
	v_or_b32_e32 v10, v11, v10
	v_xor_b32_e32 v10, 1.0, v10
	v_mul_f32_e32 v11, 0x3fc90fda, v10
	v_fma_f32 v17, v10, s41, -v11
	v_fmac_f32_e32 v17, 0x33a22168, v10
	v_fmac_f32_e32 v17, 0x3fc90fda, v0
	v_lshrrev_b32_e32 v7, 30, v7
	v_add_f32_e32 v0, v11, v17
	v_add_u32_e32 v7, v57, v7
.LBB14_28:                              ;   in Loop: Header=BB14_9 Depth=1
	s_andn2_saveexec_b64 s[0:1], s[20:21]
; %bb.29:                               ;   in Loop: Header=BB14_9 Depth=1
	v_mul_f32_e64 v0, |v5|, s42
	v_rndne_f32_e32 v10, v0
	v_cvt_i32_f32_e32 v7, v10
	v_fma_f32 v0, v10, s43, |v5|
	v_fmac_f32_e32 v0, 0xb3a22168, v10
	v_fmac_f32_e32 v0, 0xa7c234c4, v10
; %bb.30:                               ;   in Loop: Header=BB14_9 Depth=1
	s_or_b64 exec, exec, s[0:1]
	v_mul_f32_e32 v52, v0, v0
	v_mov_b32_e32 v53, 0xbf039337
	v_fmac_f32_e32 v53, 0x3c971480, v52
	v_fma_f32 v53, v52, v53, v43
	v_add_u32_e32 v10, s46, v42
	v_rcp_f32_e32 v53, v53
	v_ashrrev_i32_e32 v11, 31, v10
	v_mov_b32_e32 v17, s17
	v_add_co_u32_e32 v10, vcc, s16, v10
	v_addc_co_u32_e32 v11, vcc, v17, v11, vcc
	v_mov_b32_e32 v17, 0x3ec54587
	v_fmac_f32_e32 v17, 0xbc8cedd3, v52
	v_mul_f32_e32 v17, v17, v53
	v_mul_f32_e32 v17, v52, v17
	v_fma_f32 v52, v17, v0, v0
	v_rcp_f32_e32 v53, v52
	v_sub_f32_e32 v54, v52, v0
	v_fma_f32 v0, v17, v0, -v54
	v_and_b32_e32 v7, 1, v7
	v_fma_f32 v17, v52, -v53, 1.0
	v_fma_f32 v0, v0, -v53, v17
	v_fma_f32 v0, v0, -v53, -v53
	v_cmp_eq_u32_e32 vcc, 0, v7
	v_cndmask_b32_e32 v0, v0, v52, vcc
	v_xor_b32_e32 v6, v6, v5
	v_xor_b32_e32 v0, v6, v0
	v_cmp_class_f32_e64 vcc, v5, s44
	v_cndmask_b32_e32 v0, v48, v0, vcc
	v_mov_b32_e32 v5, s13
	v_fma_f32 v0, s14, v0, v5
	v_bfe_u32 v5, v0, 16, 1
	v_add3_u32 v5, v0, v5, s45
	v_lshrrev_b32_e32 v5, 16, v5
	v_cmp_o_f32_e32 vcc, v0, v0
	v_cndmask_b32_e32 v0, v49, v5, vcc
	global_store_short v[10:11], v0, off
.LBB14_31:                              ;   in Loop: Header=BB14_9 Depth=1
	s_or_b64 exec, exec, s[18:19]
	v_mov_b32_e32 v0, s27
	v_add_co_u32_e32 v6, vcc, s26, v14
	v_addc_co_u32_e32 v7, vcc, v0, v15, vcc
	v_cmp_gt_i64_e32 vcc, s[8:9], v[6:7]
	s_and_saveexec_b64 s[18:19], vcc
	s_cbranch_execz .LBB14_37
; %bb.32:                               ;   in Loop: Header=BB14_9 Depth=1
	v_cvt_f32_u32_e32 v0, v8
	v_mov_b32_e32 v5, 0x2f800000
                                        ; implicit-def: $vgpr7
	v_fmac_f32_e32 v5, 0x2f800000, v0
	v_cmp_nlt_f32_e32 vcc, s12, v5
	v_cndmask_b32_e32 v0, v44, v5, vcc
	v_cmp_ngt_f32_e32 vcc, s31, v0
	v_cndmask_b32_e32 v0, v45, v0, vcc
	v_add_f32_e32 v0, -0.5, v0
	v_mul_f32_e32 v5, 0x40490fdb, v0
	v_and_b32_e32 v6, 0x7fffffff, v5
	v_cmp_nlt_f32_e64 s[0:1], |v5|, s33
                                        ; implicit-def: $vgpr0
	s_and_saveexec_b64 s[2:3], s[0:1]
	s_xor_b64 s[20:21], exec, s[2:3]
	s_cbranch_execz .LBB14_34
; %bb.33:                               ;   in Loop: Header=BB14_9 Depth=1
	v_lshrrev_b32_e32 v0, 23, v6
	v_add_u32_e32 v0, 0xffffff88, v0
	v_cmp_lt_u32_e32 vcc, 63, v0
	v_cndmask_b32_e32 v7, 0, v46, vcc
	v_add_u32_e32 v0, v7, v0
	v_cmp_lt_u32_e64 s[0:1], 31, v0
	v_cndmask_b32_e64 v7, 0, v47, s[0:1]
	v_add_u32_e32 v0, v7, v0
	v_cmp_lt_u32_e64 s[2:3], 31, v0
	v_cndmask_b32_e64 v7, 0, v47, s[2:3]
	v_add_u32_e32 v7, v7, v0
	v_and_b32_e32 v0, 0x7fffff, v6
	v_or_b32_e32 v8, 0x800000, v0
	v_mad_u64_u32 v[10:11], s[4:5], v8, s34, 0
	v_mov_b32_e32 v0, v11
	v_mad_u64_u32 v[52:53], s[4:5], v8, s35, v[0:1]
	v_mov_b32_e32 v0, v53
	;; [unrolled: 2-line block ×6, first 2 shown]
	v_mad_u64_u32 v[62:63], s[4:5], v8, s40, v[0:1]
	v_cndmask_b32_e32 v11, v60, v56, vcc
	v_cndmask_b32_e32 v0, v62, v58, vcc
	;; [unrolled: 1-line block ×3, first 2 shown]
	v_cndmask_b32_e64 v8, v0, v11, s[0:1]
	v_cndmask_b32_e64 v0, v17, v0, s[0:1]
	v_cndmask_b32_e32 v17, v58, v54, vcc
	v_cndmask_b32_e64 v11, v11, v17, s[0:1]
	v_cndmask_b32_e64 v0, v0, v8, s[2:3]
	;; [unrolled: 1-line block ×3, first 2 shown]
	v_sub_u32_e32 v53, 32, v7
	v_alignbit_b32 v55, v0, v8, v53
	v_cmp_eq_u32_e64 s[4:5], 0, v7
	v_cndmask_b32_e64 v7, v55, v0, s[4:5]
	v_cndmask_b32_e32 v0, v56, v52, vcc
	v_cndmask_b32_e64 v17, v17, v0, s[0:1]
	v_cndmask_b32_e64 v11, v11, v17, s[2:3]
	v_alignbit_b32 v52, v8, v11, v53
	v_cndmask_b32_e32 v10, v54, v10, vcc
	v_cndmask_b32_e64 v8, v52, v8, s[4:5]
	v_bfe_u32 v56, v7, 29, 1
	v_cndmask_b32_e64 v0, v0, v10, s[0:1]
	v_alignbit_b32 v52, v7, v8, 30
	v_sub_u32_e32 v57, 0, v56
	v_cndmask_b32_e64 v0, v17, v0, s[2:3]
	v_xor_b32_e32 v58, v52, v57
	v_alignbit_b32 v10, v11, v0, v53
	v_cndmask_b32_e64 v10, v10, v11, s[4:5]
	v_ffbh_u32_e32 v11, v58
	v_add_u32_e32 v11, 1, v11
	v_cmp_ne_u32_e32 vcc, v52, v57
	v_alignbit_b32 v8, v8, v10, 30
	v_cndmask_b32_e32 v11, 33, v11, vcc
	v_alignbit_b32 v0, v10, v0, 30
	v_xor_b32_e32 v8, v8, v57
	v_sub_u32_e32 v17, 32, v11
	v_xor_b32_e32 v0, v0, v57
	v_alignbit_b32 v52, v58, v8, v17
	v_alignbit_b32 v0, v8, v0, v17
	;; [unrolled: 1-line block ×3, first 2 shown]
	v_ffbh_u32_e32 v10, v8
	v_min_u32_e32 v10, 32, v10
	v_lshrrev_b32_e32 v55, 29, v7
	v_sub_u32_e32 v17, 31, v10
	v_alignbit_b32 v0, v8, v0, v17
	v_lshlrev_b32_e32 v8, 31, v55
	v_or_b32_e32 v17, 0x33800000, v8
	v_add_lshl_u32 v10, v10, v11, 23
	v_lshrrev_b32_e32 v0, 9, v0
	v_sub_u32_e32 v10, v17, v10
	v_or_b32_e32 v0, v10, v0
	v_alignbit_b32 v10, v11, v52, 9
	v_or_b32_e32 v8, v10, v8
	v_xor_b32_e32 v8, 1.0, v8
	v_mul_f32_e32 v10, 0x3fc90fda, v8
	v_fma_f32 v11, v8, s41, -v10
	v_fmac_f32_e32 v11, 0x33a22168, v8
	v_fmac_f32_e32 v11, 0x3fc90fda, v0
	v_lshrrev_b32_e32 v7, 30, v7
	v_add_f32_e32 v0, v10, v11
	v_add_u32_e32 v7, v56, v7
.LBB14_34:                              ;   in Loop: Header=BB14_9 Depth=1
	s_andn2_saveexec_b64 s[0:1], s[20:21]
; %bb.35:                               ;   in Loop: Header=BB14_9 Depth=1
	v_mul_f32_e64 v0, |v5|, s42
	v_rndne_f32_e32 v8, v0
	v_cvt_i32_f32_e32 v7, v8
	v_fma_f32 v0, v8, s43, |v5|
	v_fmac_f32_e32 v0, 0xb3a22168, v8
	v_fmac_f32_e32 v0, 0xa7c234c4, v8
; %bb.36:                               ;   in Loop: Header=BB14_9 Depth=1
	s_or_b64 exec, exec, s[0:1]
	v_mul_f32_e32 v52, v0, v0
	v_mov_b32_e32 v10, 0xbf039337
	v_fmac_f32_e32 v10, 0x3c971480, v52
	v_fma_f32 v10, v52, v10, v43
	v_rcp_f32_e32 v53, v10
	v_add_u32_e32 v8, s46, v41
	v_ashrrev_i32_e32 v11, 31, v8
	v_add_co_u32_e32 v10, vcc, s16, v8
	v_mov_b32_e32 v8, 0x3ec54587
	v_fmac_f32_e32 v8, 0xbc8cedd3, v52
	v_mul_f32_e32 v8, v8, v53
	v_mov_b32_e32 v17, s17
	v_mul_f32_e32 v8, v52, v8
	v_addc_co_u32_e32 v11, vcc, v17, v11, vcc
	v_fma_f32 v17, v8, v0, v0
	v_rcp_f32_e32 v52, v17
	v_sub_f32_e32 v53, v17, v0
	v_fma_f32 v0, v8, v0, -v53
	v_and_b32_e32 v7, 1, v7
	v_fma_f32 v8, v17, -v52, 1.0
	v_fma_f32 v0, v0, -v52, v8
	v_fma_f32 v0, v0, -v52, -v52
	v_cmp_eq_u32_e32 vcc, 0, v7
	v_cndmask_b32_e32 v0, v0, v17, vcc
	v_xor_b32_e32 v6, v6, v5
	v_xor_b32_e32 v0, v6, v0
	v_cmp_class_f32_e64 vcc, v5, s44
	v_cndmask_b32_e32 v0, v48, v0, vcc
	v_mov_b32_e32 v5, s13
	v_fma_f32 v0, s14, v0, v5
	v_bfe_u32 v5, v0, 16, 1
	v_add3_u32 v5, v0, v5, s45
	v_lshrrev_b32_e32 v5, 16, v5
	v_cmp_o_f32_e32 vcc, v0, v0
	v_cndmask_b32_e32 v0, v49, v5, vcc
	global_store_short v[10:11], v0, off
.LBB14_37:                              ;   in Loop: Header=BB14_9 Depth=1
	s_or_b64 exec, exec, s[18:19]
	v_mov_b32_e32 v0, s29
	v_add_co_u32_e32 v6, vcc, s28, v14
	v_addc_co_u32_e32 v7, vcc, v0, v15, vcc
	v_cmp_gt_i64_e32 vcc, s[8:9], v[6:7]
	s_and_saveexec_b64 s[18:19], vcc
	s_cbranch_execz .LBB14_8
; %bb.38:                               ;   in Loop: Header=BB14_9 Depth=1
	v_cvt_f32_u32_e32 v0, v9
	v_mov_b32_e32 v5, 0x2f800000
                                        ; implicit-def: $vgpr7
	v_fmac_f32_e32 v5, 0x2f800000, v0
	v_cmp_nlt_f32_e32 vcc, s12, v5
	v_cndmask_b32_e32 v0, v44, v5, vcc
	v_cmp_ngt_f32_e32 vcc, s31, v0
	v_cndmask_b32_e32 v0, v45, v0, vcc
	v_add_f32_e32 v0, -0.5, v0
	v_mul_f32_e32 v5, 0x40490fdb, v0
	v_and_b32_e32 v6, 0x7fffffff, v5
	v_cmp_nlt_f32_e64 s[0:1], |v5|, s33
                                        ; implicit-def: $vgpr0
	s_and_saveexec_b64 s[2:3], s[0:1]
	s_xor_b64 s[20:21], exec, s[2:3]
	s_cbranch_execz .LBB14_40
; %bb.39:                               ;   in Loop: Header=BB14_9 Depth=1
	v_lshrrev_b32_e32 v0, 23, v6
	v_add_u32_e32 v0, 0xffffff88, v0
	v_cmp_lt_u32_e32 vcc, 63, v0
	v_cndmask_b32_e32 v7, 0, v46, vcc
	v_add_u32_e32 v0, v7, v0
	v_cmp_lt_u32_e64 s[0:1], 31, v0
	v_cndmask_b32_e64 v7, 0, v47, s[0:1]
	v_add_u32_e32 v0, v7, v0
	v_cmp_lt_u32_e64 s[2:3], 31, v0
	v_cndmask_b32_e64 v7, 0, v47, s[2:3]
	v_add_u32_e32 v7, v7, v0
	v_and_b32_e32 v0, 0x7fffff, v6
	v_or_b32_e32 v17, 0x800000, v0
	v_mad_u64_u32 v[8:9], s[4:5], v17, s34, 0
	v_mov_b32_e32 v0, v9
	v_mad_u64_u32 v[10:11], s[4:5], v17, s35, v[0:1]
	v_mov_b32_e32 v0, v11
	;; [unrolled: 2-line block ×6, first 2 shown]
	v_mad_u64_u32 v[60:61], s[4:5], v17, s40, v[0:1]
	v_cndmask_b32_e32 v9, v58, v54, vcc
	v_cndmask_b32_e32 v0, v60, v56, vcc
	;; [unrolled: 1-line block ×3, first 2 shown]
	v_cndmask_b32_e64 v11, v0, v9, s[0:1]
	v_cndmask_b32_e64 v0, v17, v0, s[0:1]
	v_cndmask_b32_e32 v17, v56, v52, vcc
	v_cndmask_b32_e64 v9, v9, v17, s[0:1]
	v_cndmask_b32_e64 v0, v0, v11, s[2:3]
	;; [unrolled: 1-line block ×3, first 2 shown]
	v_sub_u32_e32 v53, 32, v7
	v_alignbit_b32 v55, v0, v11, v53
	v_cmp_eq_u32_e64 s[4:5], 0, v7
	v_cndmask_b32_e64 v7, v55, v0, s[4:5]
	v_cndmask_b32_e32 v0, v54, v10, vcc
	v_cndmask_b32_e64 v10, v17, v0, s[0:1]
	v_cndmask_b32_e64 v9, v9, v10, s[2:3]
	v_alignbit_b32 v17, v11, v9, v53
	v_cndmask_b32_e64 v11, v17, v11, s[4:5]
	v_bfe_u32 v55, v7, 29, 1
	v_cndmask_b32_e32 v8, v52, v8, vcc
	v_alignbit_b32 v17, v7, v11, 30
	v_sub_u32_e32 v56, 0, v55
	v_cndmask_b32_e64 v0, v0, v8, s[0:1]
	v_xor_b32_e32 v57, v17, v56
	v_cndmask_b32_e64 v0, v10, v0, s[2:3]
	v_alignbit_b32 v8, v9, v0, v53
	v_ffbh_u32_e32 v10, v57
	v_cndmask_b32_e64 v8, v8, v9, s[4:5]
	v_add_u32_e32 v10, 1, v10
	v_cmp_ne_u32_e32 vcc, v17, v56
	v_alignbit_b32 v9, v11, v8, 30
	v_cndmask_b32_e32 v10, 33, v10, vcc
	v_alignbit_b32 v0, v8, v0, 30
	v_xor_b32_e32 v9, v9, v56
	v_sub_u32_e32 v11, 32, v10
	v_xor_b32_e32 v0, v0, v56
	v_alignbit_b32 v17, v57, v9, v11
	v_alignbit_b32 v0, v9, v0, v11
	;; [unrolled: 1-line block ×3, first 2 shown]
	v_ffbh_u32_e32 v9, v8
	v_min_u32_e32 v9, 32, v9
	v_lshrrev_b32_e32 v54, 29, v7
	v_sub_u32_e32 v11, 31, v9
	v_alignbit_b32 v0, v8, v0, v11
	v_lshlrev_b32_e32 v8, 31, v54
	v_or_b32_e32 v11, 0x33800000, v8
	v_add_lshl_u32 v9, v9, v10, 23
	v_lshrrev_b32_e32 v0, 9, v0
	v_sub_u32_e32 v9, v11, v9
	v_or_b32_e32 v0, v9, v0
	v_alignbit_b32 v9, v10, v17, 9
	v_or_b32_e32 v8, v9, v8
	v_xor_b32_e32 v8, 1.0, v8
	v_mul_f32_e32 v9, 0x3fc90fda, v8
	v_fma_f32 v10, v8, s41, -v9
	v_fmac_f32_e32 v10, 0x33a22168, v8
	v_fmac_f32_e32 v10, 0x3fc90fda, v0
	v_lshrrev_b32_e32 v7, 30, v7
	v_add_f32_e32 v0, v9, v10
	v_add_u32_e32 v7, v55, v7
.LBB14_40:                              ;   in Loop: Header=BB14_9 Depth=1
	s_andn2_saveexec_b64 s[0:1], s[20:21]
	s_cbranch_execz .LBB14_7
; %bb.41:                               ;   in Loop: Header=BB14_9 Depth=1
	v_mul_f32_e64 v0, |v5|, s42
	v_rndne_f32_e32 v8, v0
	v_cvt_i32_f32_e32 v7, v8
	v_fma_f32 v0, v8, s43, |v5|
	v_fmac_f32_e32 v0, 0xb3a22168, v8
	v_fmac_f32_e32 v0, 0xa7c234c4, v8
	s_branch .LBB14_7
.LBB14_42:
	s_endpgm
.LBB14_43:
                                        ; implicit-def: $sgpr2_sgpr3
	s_andn2_b64 vcc, exec, s[0:1]
	s_cbranch_vccz .LBB14_4
	s_branch .LBB14_5
	.section	.rodata,"a",@progbits
	.p2align	6, 0x0
	.amdhsa_kernel _ZN2at6native12_GLOBAL__N_143distribution_elementwise_grid_stride_kernelIfLi4EZNS0_9templates4cuda21uniform_and_transformIN3c108BFloat16EfPNS_17CUDAGeneratorImplEZZZNS4_13cauchy_kernelIS9_EEvRNS_18TensorIteratorBaseEddT_ENKUlvE_clEvENKUlvE2_clEvEUlfE_EEvSC_T1_T2_EUlP25hiprandStatePhilox4_32_10E0_ZNS1_27distribution_nullary_kernelIS7_f15HIP_vector_typeIfLj4EES9_SL_SG_EEvSC_SI_RKT3_T4_EUlifE_EEvlNS_15PhiloxCudaStateESH_SI_
		.amdhsa_group_segment_fixed_size 0
		.amdhsa_private_segment_fixed_size 0
		.amdhsa_kernarg_size 328
		.amdhsa_user_sgpr_count 6
		.amdhsa_user_sgpr_private_segment_buffer 1
		.amdhsa_user_sgpr_dispatch_ptr 0
		.amdhsa_user_sgpr_queue_ptr 0
		.amdhsa_user_sgpr_kernarg_segment_ptr 1
		.amdhsa_user_sgpr_dispatch_id 0
		.amdhsa_user_sgpr_flat_scratch_init 0
		.amdhsa_user_sgpr_kernarg_preload_length 0
		.amdhsa_user_sgpr_kernarg_preload_offset 0
		.amdhsa_user_sgpr_private_segment_size 0
		.amdhsa_uses_dynamic_stack 0
		.amdhsa_system_sgpr_private_segment_wavefront_offset 0
		.amdhsa_system_sgpr_workgroup_id_x 1
		.amdhsa_system_sgpr_workgroup_id_y 0
		.amdhsa_system_sgpr_workgroup_id_z 0
		.amdhsa_system_sgpr_workgroup_info 0
		.amdhsa_system_vgpr_workitem_id 0
		.amdhsa_next_free_vgpr 64
		.amdhsa_next_free_sgpr 47
		.amdhsa_accum_offset 64
		.amdhsa_reserve_vcc 1
		.amdhsa_reserve_flat_scratch 0
		.amdhsa_float_round_mode_32 0
		.amdhsa_float_round_mode_16_64 0
		.amdhsa_float_denorm_mode_32 3
		.amdhsa_float_denorm_mode_16_64 3
		.amdhsa_dx10_clamp 1
		.amdhsa_ieee_mode 1
		.amdhsa_fp16_overflow 0
		.amdhsa_tg_split 0
		.amdhsa_exception_fp_ieee_invalid_op 0
		.amdhsa_exception_fp_denorm_src 0
		.amdhsa_exception_fp_ieee_div_zero 0
		.amdhsa_exception_fp_ieee_overflow 0
		.amdhsa_exception_fp_ieee_underflow 0
		.amdhsa_exception_fp_ieee_inexact 0
		.amdhsa_exception_int_div_zero 0
	.end_amdhsa_kernel
	.section	.text._ZN2at6native12_GLOBAL__N_143distribution_elementwise_grid_stride_kernelIfLi4EZNS0_9templates4cuda21uniform_and_transformIN3c108BFloat16EfPNS_17CUDAGeneratorImplEZZZNS4_13cauchy_kernelIS9_EEvRNS_18TensorIteratorBaseEddT_ENKUlvE_clEvENKUlvE2_clEvEUlfE_EEvSC_T1_T2_EUlP25hiprandStatePhilox4_32_10E0_ZNS1_27distribution_nullary_kernelIS7_f15HIP_vector_typeIfLj4EES9_SL_SG_EEvSC_SI_RKT3_T4_EUlifE_EEvlNS_15PhiloxCudaStateESH_SI_,"axG",@progbits,_ZN2at6native12_GLOBAL__N_143distribution_elementwise_grid_stride_kernelIfLi4EZNS0_9templates4cuda21uniform_and_transformIN3c108BFloat16EfPNS_17CUDAGeneratorImplEZZZNS4_13cauchy_kernelIS9_EEvRNS_18TensorIteratorBaseEddT_ENKUlvE_clEvENKUlvE2_clEvEUlfE_EEvSC_T1_T2_EUlP25hiprandStatePhilox4_32_10E0_ZNS1_27distribution_nullary_kernelIS7_f15HIP_vector_typeIfLj4EES9_SL_SG_EEvSC_SI_RKT3_T4_EUlifE_EEvlNS_15PhiloxCudaStateESH_SI_,comdat
.Lfunc_end14:
	.size	_ZN2at6native12_GLOBAL__N_143distribution_elementwise_grid_stride_kernelIfLi4EZNS0_9templates4cuda21uniform_and_transformIN3c108BFloat16EfPNS_17CUDAGeneratorImplEZZZNS4_13cauchy_kernelIS9_EEvRNS_18TensorIteratorBaseEddT_ENKUlvE_clEvENKUlvE2_clEvEUlfE_EEvSC_T1_T2_EUlP25hiprandStatePhilox4_32_10E0_ZNS1_27distribution_nullary_kernelIS7_f15HIP_vector_typeIfLj4EES9_SL_SG_EEvSC_SI_RKT3_T4_EUlifE_EEvlNS_15PhiloxCudaStateESH_SI_, .Lfunc_end14-_ZN2at6native12_GLOBAL__N_143distribution_elementwise_grid_stride_kernelIfLi4EZNS0_9templates4cuda21uniform_and_transformIN3c108BFloat16EfPNS_17CUDAGeneratorImplEZZZNS4_13cauchy_kernelIS9_EEvRNS_18TensorIteratorBaseEddT_ENKUlvE_clEvENKUlvE2_clEvEUlfE_EEvSC_T1_T2_EUlP25hiprandStatePhilox4_32_10E0_ZNS1_27distribution_nullary_kernelIS7_f15HIP_vector_typeIfLj4EES9_SL_SG_EEvSC_SI_RKT3_T4_EUlifE_EEvlNS_15PhiloxCudaStateESH_SI_
                                        ; -- End function
	.section	.AMDGPU.csdata,"",@progbits
; Kernel info:
; codeLenInByte = 5784
; NumSgprs: 51
; NumVgprs: 64
; NumAgprs: 0
; TotalNumVgprs: 64
; ScratchSize: 0
; MemoryBound: 0
; FloatMode: 240
; IeeeMode: 1
; LDSByteSize: 0 bytes/workgroup (compile time only)
; SGPRBlocks: 6
; VGPRBlocks: 7
; NumSGPRsForWavesPerEU: 51
; NumVGPRsForWavesPerEU: 64
; AccumOffset: 64
; Occupancy: 8
; WaveLimiterHint : 0
; COMPUTE_PGM_RSRC2:SCRATCH_EN: 0
; COMPUTE_PGM_RSRC2:USER_SGPR: 6
; COMPUTE_PGM_RSRC2:TRAP_HANDLER: 0
; COMPUTE_PGM_RSRC2:TGID_X_EN: 1
; COMPUTE_PGM_RSRC2:TGID_Y_EN: 0
; COMPUTE_PGM_RSRC2:TGID_Z_EN: 0
; COMPUTE_PGM_RSRC2:TIDIG_COMP_CNT: 0
; COMPUTE_PGM_RSRC3_GFX90A:ACCUM_OFFSET: 15
; COMPUTE_PGM_RSRC3_GFX90A:TG_SPLIT: 0
	.section	.text._ZN2at6native12_GLOBAL__N_143distribution_elementwise_grid_stride_kernelIfLi4EZNS0_9templates4cuda21uniform_and_transformIN3c108BFloat16EfPNS_17CUDAGeneratorImplEZZZNS4_13cauchy_kernelIS9_EEvRNS_18TensorIteratorBaseEddT_ENKUlvE_clEvENKUlvE2_clEvEUlfE_EEvSC_T1_T2_EUlP25hiprandStatePhilox4_32_10E0_ZNS1_27distribution_nullary_kernelIS7_f15HIP_vector_typeIfLj4EES9_SL_SG_EEvSC_SI_RKT3_T4_EUlifE0_EEvlNS_15PhiloxCudaStateESH_SI_,"axG",@progbits,_ZN2at6native12_GLOBAL__N_143distribution_elementwise_grid_stride_kernelIfLi4EZNS0_9templates4cuda21uniform_and_transformIN3c108BFloat16EfPNS_17CUDAGeneratorImplEZZZNS4_13cauchy_kernelIS9_EEvRNS_18TensorIteratorBaseEddT_ENKUlvE_clEvENKUlvE2_clEvEUlfE_EEvSC_T1_T2_EUlP25hiprandStatePhilox4_32_10E0_ZNS1_27distribution_nullary_kernelIS7_f15HIP_vector_typeIfLj4EES9_SL_SG_EEvSC_SI_RKT3_T4_EUlifE0_EEvlNS_15PhiloxCudaStateESH_SI_,comdat
	.globl	_ZN2at6native12_GLOBAL__N_143distribution_elementwise_grid_stride_kernelIfLi4EZNS0_9templates4cuda21uniform_and_transformIN3c108BFloat16EfPNS_17CUDAGeneratorImplEZZZNS4_13cauchy_kernelIS9_EEvRNS_18TensorIteratorBaseEddT_ENKUlvE_clEvENKUlvE2_clEvEUlfE_EEvSC_T1_T2_EUlP25hiprandStatePhilox4_32_10E0_ZNS1_27distribution_nullary_kernelIS7_f15HIP_vector_typeIfLj4EES9_SL_SG_EEvSC_SI_RKT3_T4_EUlifE0_EEvlNS_15PhiloxCudaStateESH_SI_ ; -- Begin function _ZN2at6native12_GLOBAL__N_143distribution_elementwise_grid_stride_kernelIfLi4EZNS0_9templates4cuda21uniform_and_transformIN3c108BFloat16EfPNS_17CUDAGeneratorImplEZZZNS4_13cauchy_kernelIS9_EEvRNS_18TensorIteratorBaseEddT_ENKUlvE_clEvENKUlvE2_clEvEUlfE_EEvSC_T1_T2_EUlP25hiprandStatePhilox4_32_10E0_ZNS1_27distribution_nullary_kernelIS7_f15HIP_vector_typeIfLj4EES9_SL_SG_EEvSC_SI_RKT3_T4_EUlifE0_EEvlNS_15PhiloxCudaStateESH_SI_
	.p2align	8
	.type	_ZN2at6native12_GLOBAL__N_143distribution_elementwise_grid_stride_kernelIfLi4EZNS0_9templates4cuda21uniform_and_transformIN3c108BFloat16EfPNS_17CUDAGeneratorImplEZZZNS4_13cauchy_kernelIS9_EEvRNS_18TensorIteratorBaseEddT_ENKUlvE_clEvENKUlvE2_clEvEUlfE_EEvSC_T1_T2_EUlP25hiprandStatePhilox4_32_10E0_ZNS1_27distribution_nullary_kernelIS7_f15HIP_vector_typeIfLj4EES9_SL_SG_EEvSC_SI_RKT3_T4_EUlifE0_EEvlNS_15PhiloxCudaStateESH_SI_,@function
_ZN2at6native12_GLOBAL__N_143distribution_elementwise_grid_stride_kernelIfLi4EZNS0_9templates4cuda21uniform_and_transformIN3c108BFloat16EfPNS_17CUDAGeneratorImplEZZZNS4_13cauchy_kernelIS9_EEvRNS_18TensorIteratorBaseEddT_ENKUlvE_clEvENKUlvE2_clEvEUlfE_EEvSC_T1_T2_EUlP25hiprandStatePhilox4_32_10E0_ZNS1_27distribution_nullary_kernelIS7_f15HIP_vector_typeIfLj4EES9_SL_SG_EEvSC_SI_RKT3_T4_EUlifE0_EEvlNS_15PhiloxCudaStateESH_SI_: ; @_ZN2at6native12_GLOBAL__N_143distribution_elementwise_grid_stride_kernelIfLi4EZNS0_9templates4cuda21uniform_and_transformIN3c108BFloat16EfPNS_17CUDAGeneratorImplEZZZNS4_13cauchy_kernelIS9_EEvRNS_18TensorIteratorBaseEddT_ENKUlvE_clEvENKUlvE2_clEvEUlfE_EEvSC_T1_T2_EUlP25hiprandStatePhilox4_32_10E0_ZNS1_27distribution_nullary_kernelIS7_f15HIP_vector_typeIfLj4EES9_SL_SG_EEvSC_SI_RKT3_T4_EUlifE0_EEvlNS_15PhiloxCudaStateESH_SI_
; %bb.0:
	s_load_dword s2, s[4:5], 0x20
	s_load_dwordx2 s[0:1], s[4:5], 0x10
	s_load_dwordx4 s[24:27], s[4:5], 0x0
	s_waitcnt lgkmcnt(0)
	s_bitcmp0_b32 s2, 0
	s_mov_b32 s2, 0
	v_pk_mov_b32 v[2:3], s[0:1], s[0:1] op_sel:[0,1]
	v_pk_mov_b32 v[12:13], s[26:27], s[26:27] op_sel:[0,1]
	s_cbranch_scc1 .LBB15_2
; %bb.1:
	v_pk_mov_b32 v[2:3], s[0:1], s[0:1] op_sel:[0,1]
	flat_load_dwordx2 v[2:3], v[2:3]
	v_pk_mov_b32 v[4:5], s[26:27], s[26:27] op_sel:[0,1]
	flat_load_dwordx2 v[12:13], v[4:5]
	s_load_dwordx2 s[0:1], s[4:5], 0x18
	s_waitcnt lgkmcnt(0)
	v_mov_b32_e32 v1, s1
	s_waitcnt vmcnt(0)
	v_add_co_u32_e32 v2, vcc, s0, v2
	v_addc_co_u32_e32 v3, vcc, v3, v1, vcc
.LBB15_2:
	s_load_dword s0, s[4:5], 0x154
	s_load_dword s7, s[4:5], 0x148
	s_waitcnt lgkmcnt(0)
	s_and_b32 s8, s0, 0xffff
	s_add_u32 s9, s24, -1
	s_mul_i32 s33, s7, s8
	s_addc_u32 s3, s25, -1
	s_lshl_b32 s60, s33, 2
	s_cmp_lg_u64 s[2:3], 0
	s_mov_b64 s[0:1], -1
	s_cbranch_scc0 .LBB15_99
; %bb.3:
	v_cvt_f32_u32_e32 v1, s60
	v_cvt_f32_ubyte0_e32 v4, 0
	s_sub_u32 s2, 0, s60
	s_subb_u32 s10, 0, 0
	v_madmk_f32 v1, v4, 0x4f800000, v1
	v_rcp_f32_e32 v1, v1
	v_mul_f32_e32 v1, 0x5f7ffffc, v1
	v_mul_f32_e32 v4, 0x2f800000, v1
	v_trunc_f32_e32 v4, v4
	v_madmk_f32 v1, v4, 0xcf800000, v1
	v_cvt_u32_f32_e32 v4, v4
	v_cvt_u32_f32_e32 v1, v1
	v_readfirstlane_b32 s11, v4
	v_readfirstlane_b32 s12, v1
	s_mul_i32 s13, s2, s11
	s_mul_hi_u32 s15, s2, s12
	s_mul_i32 s14, s10, s12
	s_add_i32 s13, s15, s13
	s_add_i32 s13, s13, s14
	s_mul_i32 s16, s2, s12
	s_mul_hi_u32 s14, s12, s13
	s_mul_i32 s15, s12, s13
	s_mul_hi_u32 s12, s12, s16
	s_add_u32 s12, s12, s15
	s_addc_u32 s14, 0, s14
	s_mul_hi_u32 s17, s11, s16
	s_mul_i32 s16, s11, s16
	s_add_u32 s12, s12, s16
	s_mul_hi_u32 s15, s11, s13
	s_addc_u32 s12, s14, s17
	s_addc_u32 s14, s15, 0
	s_mul_i32 s13, s11, s13
	s_add_u32 s12, s12, s13
	s_addc_u32 s13, 0, s14
	v_add_co_u32_e32 v1, vcc, s12, v1
	s_cmp_lg_u64 vcc, 0
	s_addc_u32 s11, s11, s13
	v_readfirstlane_b32 s13, v1
	s_mul_i32 s12, s2, s11
	s_mul_hi_u32 s14, s2, s13
	s_add_i32 s12, s14, s12
	s_mul_i32 s10, s10, s13
	s_add_i32 s12, s12, s10
	s_mul_i32 s2, s2, s13
	s_mul_hi_u32 s14, s11, s2
	s_mul_i32 s15, s11, s2
	s_mul_i32 s17, s13, s12
	s_mul_hi_u32 s2, s13, s2
	s_mul_hi_u32 s16, s13, s12
	s_add_u32 s2, s2, s17
	s_addc_u32 s13, 0, s16
	s_add_u32 s2, s2, s15
	s_mul_hi_u32 s10, s11, s12
	s_addc_u32 s2, s13, s14
	s_addc_u32 s10, s10, 0
	s_mul_i32 s12, s11, s12
	s_add_u32 s2, s2, s12
	s_addc_u32 s10, 0, s10
	v_add_co_u32_e32 v1, vcc, s2, v1
	s_cmp_lg_u64 vcc, 0
	s_addc_u32 s12, s11, s10
	s_ashr_i32 s10, s3, 31
	s_add_u32 s2, s9, s10
	s_mov_b32 s11, s10
	s_addc_u32 s3, s3, s10
	s_xor_b64 s[2:3], s[2:3], s[10:11]
	v_readfirstlane_b32 s15, v1
	s_mul_i32 s14, s2, s12
	s_mul_hi_u32 s16, s2, s15
	s_mul_hi_u32 s13, s2, s12
	s_add_u32 s14, s16, s14
	s_addc_u32 s13, 0, s13
	s_mul_hi_u32 s17, s3, s15
	s_mul_i32 s15, s3, s15
	s_add_u32 s14, s14, s15
	s_mul_hi_u32 s16, s3, s12
	s_addc_u32 s13, s13, s17
	s_addc_u32 s14, s16, 0
	s_mul_i32 s12, s3, s12
	s_add_u32 s12, s13, s12
	s_addc_u32 s13, 0, s14
	s_add_u32 s14, s12, 1
	s_addc_u32 s15, s13, 0
	s_add_u32 s16, s12, 2
	s_mul_i32 s18, s60, s13
	s_mul_hi_u32 s19, s60, s12
	s_addc_u32 s17, s13, 0
	s_add_i32 s19, s19, s18
	s_mul_i32 s18, s60, s12
	v_mov_b32_e32 v1, s18
	v_sub_co_u32_e32 v1, vcc, s2, v1
	s_cmp_lg_u64 vcc, 0
	s_subb_u32 s2, s3, s19
	v_subrev_co_u32_e32 v4, vcc, s60, v1
	s_cmp_lg_u64 vcc, 0
	s_subb_u32 s3, s2, 0
	v_readfirstlane_b32 s18, v4
	s_cmp_ge_u32 s18, s60
	s_cselect_b32 s18, -1, 0
	s_cmp_eq_u32 s3, 0
	s_cselect_b32 s3, s18, -1
	s_cmp_lg_u32 s3, 0
	s_cselect_b32 s3, s17, s15
	v_readfirstlane_b32 s15, v1
	s_cselect_b32 s14, s16, s14
	s_cmp_ge_u32 s15, s60
	s_cselect_b32 s15, -1, 0
	s_cmp_eq_u32 s2, 0
	s_cselect_b32 s2, s15, -1
	s_cmp_lg_u32 s2, 0
	s_cselect_b32 s3, s3, s13
	s_cselect_b32 s2, s14, s12
	s_xor_b64 s[2:3], s[2:3], s[10:11]
	s_sub_u32 s2, s2, s10
	s_subb_u32 s3, s3, s10
	s_cbranch_execnz .LBB15_5
.LBB15_4:
	v_cvt_f32_u32_e32 v1, s60
	s_sub_i32 s0, 0, s60
	s_mov_b32 s3, 0
	v_rcp_iflag_f32_e32 v1, v1
	v_mul_f32_e32 v1, 0x4f7ffffe, v1
	v_cvt_u32_f32_e32 v1, v1
	v_readfirstlane_b32 s1, v1
	s_mul_i32 s0, s0, s1
	s_mul_hi_u32 s0, s1, s0
	s_add_i32 s1, s1, s0
	s_mul_hi_u32 s0, s9, s1
	s_mul_i32 s2, s0, s60
	s_sub_i32 s2, s9, s2
	s_add_i32 s1, s0, 1
	s_sub_i32 s9, s2, s60
	s_cmp_ge_u32 s2, s60
	s_cselect_b32 s0, s1, s0
	s_cselect_b32 s2, s9, s2
	s_add_i32 s1, s0, 1
	s_cmp_ge_u32 s2, s60
	s_cselect_b32 s2, s1, s0
.LBB15_5:
	v_mov_b32_e32 v1, 0
	v_mov_b32_e32 v4, s6
	v_mad_u64_u32 v[14:15], s[0:1], s8, v4, v[0:1]
	s_add_u32 s0, s2, 1
	s_addc_u32 s1, s3, 0
	s_mul_hi_u32 s2, s7, s8
	s_mul_i32 s1, s33, s1
	s_mul_hi_u32 s3, s33, s0
	s_add_i32 s1, s3, s1
	s_mul_i32 s2, s2, s0
	s_add_i32 s1, s1, s2
	s_mul_i32 s0, s33, s0
	s_lshl_b64 s[26:27], s[0:1], 2
	v_cmp_gt_i64_e32 vcc, s[26:27], v[14:15]
	s_and_saveexec_b64 s[0:1], vcc
	s_cbranch_execz .LBB15_98
; %bb.6:
	s_mov_b32 s0, 0x5384540f
	v_mov_b32_e32 v0, v13
	v_add_co_u32_e32 v24, vcc, s0, v12
	s_mov_b32 s0, 0x646e171e
	v_add_co_u32_e32 v25, vcc, s0, v0
	s_mov_b32 s0, 0x1715609d
	v_add_co_u32_e32 v26, vcc, s0, v12
	s_mov_b32 s0, 0xed9eba14
	v_add_co_u32_e32 v27, vcc, s0, v0
	s_mov_b32 s0, 0xdaa66d2b
	v_add_co_u32_e32 v28, vcc, s0, v12
	s_mov_b32 s0, 0x76cf5d0a
	v_add_co_u32_e32 v29, vcc, s0, v0
	s_mov_b32 s0, 0x9e3779b9
	v_alignbit_b32 v31, v3, v2, 2
	s_mov_b32 s62, 0xd2511f53
	v_add_co_u32_e32 v30, vcc, s0, v12
	v_mad_u64_u32 v[4:5], s[0:1], v31, s62, 0
	v_and_b32_e32 v20, 3, v2
	v_xor_b32_e32 v2, v5, v13
	v_xor_b32_e32 v2, v2, v15
	s_mov_b32 s63, 0xcd9e8d57
	v_mad_u64_u32 v[6:7], s[0:1], v2, s63, 0
	v_xor_b32_e32 v2, v30, v7
	v_mad_u64_u32 v[8:9], s[0:1], v14, s63, 0
	v_xor_b32_e32 v2, v2, v8
	;; [unrolled: 2-line block ×3, first 2 shown]
	v_lshrrev_b32_e32 v32, 2, v3
	v_xor_b32_e32 v2, v2, v32
	v_xor_b32_e32 v5, v29, v11
	v_mad_u64_u32 v[2:3], s[0:1], v2, s62, 0
	v_xor_b32_e32 v2, v5, v2
	v_mad_u64_u32 v[8:9], s[0:1], v2, s63, 0
	s_mov_b32 s0, 0xbb67ae85
	v_add_co_u32_e32 v33, vcc, s0, v0
	v_xor_b32_e32 v2, v33, v3
	v_xor_b32_e32 v2, v2, v4
	v_xor_b32_e32 v5, v28, v9
	v_mad_u64_u32 v[2:3], s[0:1], v2, s63, 0
	v_xor_b32_e32 v2, v5, v2
	v_mad_u64_u32 v[4:5], s[0:1], v2, s62, 0
	s_mov_b32 s0, 0x3c6ef372
	v_add_co_u32_e32 v34, vcc, s0, v12
	v_xor_b32_e32 v2, v34, v3
	;; [unrolled: 8-line block ×6, first 2 shown]
	v_add_co_u32_e32 v23, vcc, 0xdb3d7428, v0
	v_xor_b32_e32 v2, v2, v6
	v_xor_b32_e32 v5, v23, v5
	v_mad_u64_u32 v[2:3], s[0:1], v2, s62, 0
	v_xor_b32_e32 v2, v5, v2
	v_mad_u64_u32 v[16:17], s[0:1], v2, s63, 0
	s_mov_b32 s0, 0x1fd5c5a3
	v_add_co_u32_e32 v39, vcc, s0, v0
	v_xor_b32_e32 v0, v39, v3
	v_xor_b32_e32 v0, v0, v10
	v_mad_u64_u32 v[2:3], s[0:1], v0, s63, 0
	s_mov_b32 s0, 0xf1bbcdc8
	s_load_dwordx8 s[8:15], s[4:5], 0x30
	v_add_u32_e32 v21, 0x8ff34781, v12
	v_xor_b32_e32 v0, v17, v2
	v_add_co_u32_e32 v40, vcc, s0, v12
	v_xor_b32_e32 v6, v21, v0
	v_xor_b32_e32 v0, v40, v3
	;; [unrolled: 1-line block ×3, first 2 shown]
	s_add_u32 s34, s4, 48
	v_mad_u64_u32 v[2:3], s[0:1], v0, s62, 0
	s_addc_u32 s35, s5, 0
	s_waitcnt lgkmcnt(0)
	s_add_i32 s0, s8, -1
	s_cmp_gt_u32 s0, 1
	s_cselect_b64 s[40:41], -1, 0
	s_cmp_lg_u32 s8, 0
	s_cselect_b64 s[42:43], -1, 0
	s_add_u32 s44, s4, 0xf4
	s_addc_u32 s45, s5, 0
	s_min_u32 s1, s0, 15
	s_cmp_gt_u32 s8, 1
	s_cselect_b64 s[46:47], -1, 0
	s_add_i32 s1, s1, 1
	s_mov_b32 s8, s13
	s_load_dwordx2 s[48:49], s[4:5], 0xf4
	s_load_dwordx4 s[28:31], s[4:5], 0x138
	s_lshl_b32 s13, s33, 1
	s_and_b32 s66, s1, 3
	s_cmp_lg_u32 s0, 2
	s_cselect_b64 s[50:51], -1, 0
	s_and_b32 s67, s1, 28
	s_mov_b32 s61, 0
	v_add_u32_e32 v22, 0x96a522ad, v13
	v_xor_b32_e32 v0, v3, v4
	s_cmp_lg_u32 s66, 0
	v_xor_b32_e32 v8, v22, v0
	v_mov_b32_e32 v7, v16
	v_mov_b32_e32 v9, v2
	s_mov_b32 s15, s61
	s_mul_i32 s64, s33, 3
	s_mov_b32 s65, s61
	s_mov_b64 s[52:53], 0
	s_cselect_b64 s[54:55], -1, 0
	s_mov_b32 s68, 0x3f7ffffe
	s_brev_b32 s69, 44
	s_brev_b32 s70, 18
	s_mov_b32 s71, 0xfe5163ab
	s_mov_b32 s72, 0x3c439041
	;; [unrolled: 1-line block ×10, first 2 shown]
	v_mov_b32_e32 v41, 0x3f93f425
	s_movk_i32 s81, 0x1f8
	s_movk_i32 s82, 0x7fff
	v_mov_b32_e32 v42, 0x3f7ffffe
	v_bfrev_b32_e32 v43, 44
	v_not_b32_e32 v44, 63
	v_not_b32_e32 v45, 31
	v_mov_b32_e32 v46, 0x7fc00000
	v_mov_b32_e32 v47, 0x7fc0
	;; [unrolled: 1-line block ×4, first 2 shown]
	s_branch .LBB15_9
.LBB15_7:                               ;   in Loop: Header=BB15_9 Depth=1
	s_or_b64 exec, exec, s[0:1]
	v_mul_f32_e32 v9, v0, v0
	v_mov_b32_e32 v10, 0xbf039337
	v_fmac_f32_e32 v10, 0x3c971480, v9
	v_fma_f32 v10, v9, v10, v41
	v_rcp_f32_e32 v10, v10
	v_mov_b32_e32 v11, 0x3ec54587
	v_fmac_f32_e32 v11, 0xbc8cedd3, v9
	v_and_b32_e32 v8, 1, v8
	v_mul_f32_e32 v10, v11, v10
	v_mul_f32_e32 v9, v9, v10
	v_fma_f32 v10, v9, v0, v0
	v_rcp_f32_e32 v11, v10
	v_sub_f32_e32 v17, v10, v0
	v_fma_f32 v0, v9, v0, -v17
	v_cmp_eq_u32_e32 vcc, 0, v8
	v_fma_f32 v9, v10, -v11, 1.0
	v_fma_f32 v0, v0, -v11, v9
	v_fma_f32 v0, v0, -v11, -v11
	v_cndmask_b32_e32 v0, v0, v10, vcc
	v_xor_b32_e32 v7, v7, v5
	v_xor_b32_e32 v0, v7, v0
	v_cmp_class_f32_e64 vcc, v5, s81
	v_cndmask_b32_e32 v0, v46, v0, vcc
	s_waitcnt lgkmcnt(0)
	v_mov_b32_e32 v5, s30
	v_fma_f32 v0, s31, v0, v5
	v_bfe_u32 v5, v0, 16, 1
	v_add3_u32 v5, v0, v5, s82
	v_lshrrev_b32_e32 v5, 16, v5
	v_cmp_o_f32_e32 vcc, v0, v0
	v_cndmask_b32_e32 v0, v47, v5, vcc
	global_store_short v6, v0, s[28:29]
.LBB15_8:                               ;   in Loop: Header=BB15_9 Depth=1
	s_or_b64 exec, exec, s[36:37]
	v_add_co_u32_e32 v14, vcc, s60, v14
	v_mov_b32_e32 v5, v16
	v_addc_co_u32_e32 v15, vcc, 0, v15, vcc
	v_cmp_le_i64_e32 vcc, s[26:27], v[14:15]
	v_pk_mov_b32 v[8:9], v[4:5], v[4:5] op_sel:[0,1]
	s_or_b64 s[52:53], vcc, s[52:53]
	v_pk_mov_b32 v[6:7], v[2:3], v[2:3] op_sel:[0,1]
	s_waitcnt lgkmcnt(0)
	s_barrier
	s_andn2_b64 exec, exec, s[52:53]
	s_cbranch_execz .LBB15_98
.LBB15_9:                               ; =>This Loop Header: Depth=1
                                        ;     Child Loop BB15_24 Depth 2
                                        ;     Child Loop BB15_30 Depth 2
	;; [unrolled: 1-line block ×8, first 2 shown]
	v_add_co_u32_e32 v31, vcc, 1, v31
	v_cndmask_b32_e64 v0, 0, 1, vcc
	v_addc_co_u32_e32 v32, vcc, 0, v32, vcc
	v_cmp_eq_u32_e32 vcc, 0, v32
	v_cndmask_b32_e32 v0, 0, v0, vcc
	v_add_u32_e32 v48, v0, v48
	v_cmp_eq_u32_e32 vcc, 0, v48
	v_cndmask_b32_e32 v0, 0, v0, vcc
	v_mad_u64_u32 v[2:3], s[0:1], v31, s62, 0
	v_mad_u64_u32 v[4:5], s[0:1], v48, s63, 0
	v_add_u32_e32 v49, v0, v49
	v_xor_b32_e32 v0, v5, v12
	v_xor_b32_e32 v3, v3, v13
	v_xor_b32_e32 v0, v32, v0
	v_xor_b32_e32 v3, v49, v3
	v_mad_u64_u32 v[10:11], s[0:1], v0, s62, 0
	v_mad_u64_u32 v[16:17], s[0:1], v3, s63, 0
	v_xor_b32_e32 v0, v30, v17
	v_xor_b32_e32 v3, v33, v11
	v_xor_b32_e32 v0, v0, v4
	v_xor_b32_e32 v4, v3, v2
	v_mad_u64_u32 v[2:3], s[0:1], v0, s62, 0
	v_mad_u64_u32 v[4:5], s[0:1], v4, s63, 0
	;; [unrolled: 6-line block ×9, first 2 shown]
	v_xor_b32_e32 v0, v11, v2
	v_xor_b32_e32 v2, v21, v0
	;; [unrolled: 1-line block ×4, first 2 shown]
	v_mov_b32_e32 v3, v10
	v_mov_b32_e32 v4, v11
	v_cmp_lt_i32_e32 vcc, 1, v20
	s_and_saveexec_b64 s[0:1], vcc
	s_xor_b64 s[0:1], exec, s[0:1]
	s_cbranch_execz .LBB15_15
; %bb.10:                               ;   in Loop: Header=BB15_9 Depth=1
	v_cmp_lt_i32_e32 vcc, 2, v20
	s_and_saveexec_b64 s[2:3], vcc
	s_xor_b64 s[2:3], exec, s[2:3]
; %bb.11:                               ;   in Loop: Header=BB15_9 Depth=1
	v_mov_b32_e32 v8, v9
	v_mov_b32_e32 v9, v2
	v_pk_mov_b32 v[6:7], v[8:9], v[8:9] op_sel:[0,1]
	v_pk_mov_b32 v[8:9], v[10:11], v[10:11] op_sel:[0,1]
                                        ; implicit-def: $vgpr10_vgpr11
; %bb.12:                               ;   in Loop: Header=BB15_9 Depth=1
	s_andn2_saveexec_b64 s[2:3], s[2:3]
; %bb.13:                               ;   in Loop: Header=BB15_9 Depth=1
	v_mov_b32_e32 v6, v8
	v_mov_b32_e32 v7, v9
	;; [unrolled: 1-line block ×4, first 2 shown]
; %bb.14:                               ;   in Loop: Header=BB15_9 Depth=1
	s_or_b64 exec, exec, s[2:3]
.LBB15_15:                              ;   in Loop: Header=BB15_9 Depth=1
	s_andn2_saveexec_b64 s[0:1], s[0:1]
	s_cbranch_execz .LBB15_19
; %bb.16:                               ;   in Loop: Header=BB15_9 Depth=1
	v_cmp_eq_u32_e32 vcc, 1, v20
	s_and_saveexec_b64 s[2:3], vcc
; %bb.17:                               ;   in Loop: Header=BB15_9 Depth=1
	v_mov_b32_e32 v6, v7
	v_mov_b32_e32 v7, v8
	;; [unrolled: 1-line block ×4, first 2 shown]
; %bb.18:                               ;   in Loop: Header=BB15_9 Depth=1
	s_or_b64 exec, exec, s[2:3]
.LBB15_19:                              ;   in Loop: Header=BB15_9 Depth=1
	s_or_b64 exec, exec, s[0:1]
	v_cndmask_b32_e64 v0, 0, 1, s[40:41]
	v_cmp_gt_i64_e32 vcc, s[24:25], v[14:15]
	v_cmp_ne_u32_e64 s[0:1], 1, v0
	s_and_saveexec_b64 s[56:57], vcc
	s_cbranch_execz .LBB15_39
; %bb.20:                               ;   in Loop: Header=BB15_9 Depth=1
	s_and_b64 vcc, exec, s[0:1]
	s_cbranch_vccnz .LBB15_26
; %bb.21:                               ;   in Loop: Header=BB15_9 Depth=1
	s_andn2_b64 vcc, exec, s[42:43]
	s_cbranch_vccnz .LBB15_27
; %bb.22:                               ;   in Loop: Header=BB15_9 Depth=1
	s_mov_b32 s4, 0
	s_andn2_b64 vcc, exec, s[50:51]
	v_mov_b32_e32 v10, 0
	s_cbranch_vccnz .LBB15_28
; %bb.23:                               ;   in Loop: Header=BB15_9 Depth=1
	s_mov_b32 s83, 0
	v_mov_b32_e32 v10, 0
	s_mov_b64 s[2:3], s[34:35]
	s_mov_b64 s[58:59], s[44:45]
	v_mov_b32_e32 v0, v14
.LBB15_24:                              ;   Parent Loop BB15_9 Depth=1
                                        ; =>  This Inner Loop Header: Depth=2
	s_load_dwordx8 s[16:23], s[2:3], 0x4
	s_load_dwordx4 s[4:7], s[2:3], 0x24
	s_load_dwordx4 s[36:39], s[58:59], 0x0
	s_add_u32 s2, s2, 48
	s_addc_u32 s3, s3, 0
	s_waitcnt lgkmcnt(0)
	v_mul_hi_u32 v5, s17, v0
	v_add_u32_e32 v5, v0, v5
	v_lshrrev_b32_e32 v5, s18, v5
	v_mul_lo_u32 v11, v5, s16
	v_mul_hi_u32 v17, s20, v5
	v_sub_u32_e32 v0, v0, v11
	v_add_u32_e32 v11, v5, v17
	v_lshrrev_b32_e32 v11, s21, v11
	v_mul_lo_u32 v17, v11, s19
	v_mul_hi_u32 v18, s23, v11
	v_sub_u32_e32 v5, v5, v17
	v_add_u32_e32 v17, v11, v18
	v_mul_lo_u32 v0, v0, s36
	v_mul_lo_u32 v5, v5, s37
	v_lshrrev_b32_e32 v17, s4, v17
	v_add3_u32 v5, v0, v10, v5
	v_mul_lo_u32 v0, v17, s22
	v_mul_hi_u32 v10, s6, v17
	v_sub_u32_e32 v0, v11, v0
	v_add_u32_e32 v10, v17, v10
	v_mul_lo_u32 v11, v0, s38
	v_lshrrev_b32_e32 v0, s7, v10
	s_add_i32 s83, s83, 4
	v_mul_lo_u32 v10, v0, s5
	s_add_u32 s58, s58, 16
	v_sub_u32_e32 v10, v17, v10
	s_addc_u32 s59, s59, 0
	v_mul_lo_u32 v10, v10, s39
	s_cmp_lg_u32 s67, s83
	v_add3_u32 v10, v11, v5, v10
	s_cbranch_scc1 .LBB15_24
; %bb.25:                               ;   in Loop: Header=BB15_9 Depth=1
	s_mov_b32 s4, s67
	s_andn2_b64 vcc, exec, s[54:55]
	s_cbranch_vccz .LBB15_29
	s_branch .LBB15_31
.LBB15_26:                              ;   in Loop: Header=BB15_9 Depth=1
                                        ; implicit-def: $vgpr10
	s_branch .LBB15_32
.LBB15_27:                              ;   in Loop: Header=BB15_9 Depth=1
	v_mov_b32_e32 v10, 0
	s_branch .LBB15_31
.LBB15_28:                              ;   in Loop: Header=BB15_9 Depth=1
	v_mov_b32_e32 v0, v14
	s_andn2_b64 vcc, exec, s[54:55]
	s_cbranch_vccnz .LBB15_31
.LBB15_29:                              ;   in Loop: Header=BB15_9 Depth=1
	s_lshl_b32 s2, s4, 2
	s_add_u32 s2, s44, s2
	s_addc_u32 s3, s45, 0
	s_mul_i32 s4, s4, 12
	s_add_u32 s4, s34, s4
	s_addc_u32 s5, s35, 0
	s_mov_b32 s6, s66
.LBB15_30:                              ;   Parent Loop BB15_9 Depth=1
                                        ; =>  This Inner Loop Header: Depth=2
	s_load_dwordx2 s[16:17], s[4:5], 0x4
	s_load_dword s7, s[4:5], 0xc
	s_load_dword s18, s[2:3], 0x0
	s_add_u32 s4, s4, 12
	s_addc_u32 s5, s5, 0
	s_waitcnt lgkmcnt(0)
	v_mul_hi_u32 v5, s17, v0
	v_add_u32_e32 v5, v0, v5
	v_lshrrev_b32_e32 v5, s7, v5
	s_add_u32 s2, s2, 4
	v_mul_lo_u32 v11, v5, s16
	s_addc_u32 s3, s3, 0
	s_add_i32 s6, s6, -1
	v_sub_u32_e32 v11, v0, v11
	s_cmp_lg_u32 s6, 0
	v_mov_b32_e32 v0, v5
	v_mad_u64_u32 v[10:11], s[16:17], v11, s18, v[10:11]
	s_cbranch_scc1 .LBB15_30
.LBB15_31:                              ;   in Loop: Header=BB15_9 Depth=1
	s_cbranch_execnz .LBB15_34
.LBB15_32:                              ;   in Loop: Header=BB15_9 Depth=1
	v_mul_hi_u32 v0, v14, s10
	v_add_u32_e32 v0, v0, v14
	v_lshrrev_b32_e32 v0, s11, v0
	v_mul_lo_u32 v5, v0, s9
	v_sub_u32_e32 v5, v14, v5
	s_andn2_b64 vcc, exec, s[46:47]
	s_waitcnt lgkmcnt(0)
	v_mul_lo_u32 v10, v5, s48
	s_cbranch_vccnz .LBB15_34
; %bb.33:                               ;   in Loop: Header=BB15_9 Depth=1
	v_mul_hi_u32 v5, s8, v0
	v_add_u32_e32 v5, v0, v5
	v_lshrrev_b32_e32 v5, s14, v5
	v_mul_lo_u32 v5, v5, s12
	v_sub_u32_e32 v0, v0, v5
	v_mad_u64_u32 v[10:11], s[2:3], v0, s49, v[10:11]
.LBB15_34:                              ;   in Loop: Header=BB15_9 Depth=1
	v_cvt_f32_u32_e32 v0, v6
	v_mov_b32_e32 v5, 0x2f800000
                                        ; implicit-def: $vgpr11
	v_fmac_f32_e32 v5, 0x2f800000, v0
	v_cmp_nlt_f32_e32 vcc, s68, v5
	v_cndmask_b32_e32 v0, v42, v5, vcc
	v_cmp_ngt_f32_e32 vcc, s69, v0
	v_cndmask_b32_e32 v0, v43, v0, vcc
	v_add_f32_e32 v0, -0.5, v0
	v_mul_f32_e32 v5, 0x40490fdb, v0
	v_and_b32_e32 v6, 0x7fffffff, v5
	v_cmp_nlt_f32_e64 s[2:3], |v5|, s70
                                        ; implicit-def: $vgpr0
	s_and_saveexec_b64 s[4:5], s[2:3]
	s_xor_b64 s[16:17], exec, s[4:5]
	s_cbranch_execz .LBB15_36
; %bb.35:                               ;   in Loop: Header=BB15_9 Depth=1
	v_lshrrev_b32_e32 v0, 23, v6
	v_add_u32_e32 v0, 0xffffff88, v0
	v_cmp_lt_u32_e32 vcc, 63, v0
	v_cndmask_b32_e32 v11, 0, v44, vcc
	v_add_u32_e32 v0, v11, v0
	v_cmp_lt_u32_e64 s[2:3], 31, v0
	v_cndmask_b32_e64 v11, 0, v45, s[2:3]
	v_add_u32_e32 v0, v11, v0
	v_cmp_lt_u32_e64 s[4:5], 31, v0
	v_cndmask_b32_e64 v11, 0, v45, s[4:5]
	v_add_u32_e32 v11, v11, v0
	v_and_b32_e32 v0, 0x7fffff, v6
	v_or_b32_e32 v17, 0x800000, v0
	v_mad_u64_u32 v[18:19], s[6:7], v17, s71, 0
	v_mov_b32_e32 v0, v19
	v_mad_u64_u32 v[50:51], s[6:7], v17, s72, v[0:1]
	v_mov_b32_e32 v0, v51
	;; [unrolled: 2-line block ×6, first 2 shown]
	v_mad_u64_u32 v[60:61], s[6:7], v17, s77, v[0:1]
	v_cndmask_b32_e32 v19, v58, v54, vcc
	v_cndmask_b32_e32 v0, v60, v56, vcc
	;; [unrolled: 1-line block ×3, first 2 shown]
	v_cndmask_b32_e64 v17, v0, v19, s[2:3]
	v_cndmask_b32_e64 v0, v51, v0, s[2:3]
	v_cndmask_b32_e32 v51, v56, v52, vcc
	v_cndmask_b32_e64 v19, v19, v51, s[2:3]
	v_cndmask_b32_e64 v0, v0, v17, s[4:5]
	;; [unrolled: 1-line block ×3, first 2 shown]
	v_sub_u32_e32 v53, 32, v11
	v_alignbit_b32 v55, v0, v17, v53
	v_cmp_eq_u32_e64 s[6:7], 0, v11
	v_cndmask_b32_e64 v11, v55, v0, s[6:7]
	v_cndmask_b32_e32 v0, v54, v50, vcc
	v_cndmask_b32_e64 v50, v51, v0, s[2:3]
	v_cndmask_b32_e64 v19, v19, v50, s[4:5]
	v_alignbit_b32 v51, v17, v19, v53
	v_cndmask_b32_e32 v18, v52, v18, vcc
	v_cndmask_b32_e64 v17, v51, v17, s[6:7]
	v_bfe_u32 v55, v11, 29, 1
	v_cndmask_b32_e64 v0, v0, v18, s[2:3]
	v_alignbit_b32 v51, v11, v17, 30
	v_sub_u32_e32 v56, 0, v55
	v_cndmask_b32_e64 v0, v50, v0, s[4:5]
	v_xor_b32_e32 v57, v51, v56
	v_alignbit_b32 v18, v19, v0, v53
	v_cndmask_b32_e64 v18, v18, v19, s[6:7]
	v_ffbh_u32_e32 v19, v57
	v_add_u32_e32 v19, 1, v19
	v_cmp_ne_u32_e32 vcc, v51, v56
	v_alignbit_b32 v17, v17, v18, 30
	v_cndmask_b32_e32 v19, 33, v19, vcc
	v_alignbit_b32 v0, v18, v0, 30
	v_xor_b32_e32 v17, v17, v56
	v_sub_u32_e32 v50, 32, v19
	v_xor_b32_e32 v0, v0, v56
	v_alignbit_b32 v51, v57, v17, v50
	v_alignbit_b32 v0, v17, v0, v50
	;; [unrolled: 1-line block ×3, first 2 shown]
	v_ffbh_u32_e32 v18, v17
	v_min_u32_e32 v18, 32, v18
	v_lshrrev_b32_e32 v54, 29, v11
	v_sub_u32_e32 v50, 31, v18
	v_alignbit_b32 v0, v17, v0, v50
	v_lshlrev_b32_e32 v17, 31, v54
	v_or_b32_e32 v50, 0x33800000, v17
	v_add_lshl_u32 v18, v18, v19, 23
	v_lshrrev_b32_e32 v0, 9, v0
	v_sub_u32_e32 v18, v50, v18
	v_or_b32_e32 v0, v18, v0
	v_alignbit_b32 v18, v19, v51, 9
	v_or_b32_e32 v17, v18, v17
	v_xor_b32_e32 v17, 1.0, v17
	v_mul_f32_e32 v18, 0x3fc90fda, v17
	v_fma_f32 v19, v17, s78, -v18
	v_fmac_f32_e32 v19, 0x33a22168, v17
	v_fmac_f32_e32 v19, 0x3fc90fda, v0
	v_lshrrev_b32_e32 v11, 30, v11
	v_add_f32_e32 v0, v18, v19
	v_add_u32_e32 v11, v55, v11
.LBB15_36:                              ;   in Loop: Header=BB15_9 Depth=1
	s_andn2_saveexec_b64 s[2:3], s[16:17]
; %bb.37:                               ;   in Loop: Header=BB15_9 Depth=1
	v_mul_f32_e64 v0, |v5|, s79
	v_rndne_f32_e32 v17, v0
	v_cvt_i32_f32_e32 v11, v17
	v_fma_f32 v0, v17, s80, |v5|
	v_fmac_f32_e32 v0, 0xb3a22168, v17
	v_fmac_f32_e32 v0, 0xa7c234c4, v17
; %bb.38:                               ;   in Loop: Header=BB15_9 Depth=1
	s_or_b64 exec, exec, s[2:3]
	v_mul_f32_e32 v17, v0, v0
	v_mov_b32_e32 v18, 0xbf039337
	v_fmac_f32_e32 v18, 0x3c971480, v17
	v_fma_f32 v18, v17, v18, v41
	v_rcp_f32_e32 v18, v18
	v_mov_b32_e32 v19, 0x3ec54587
	v_fmac_f32_e32 v19, 0xbc8cedd3, v17
	v_and_b32_e32 v11, 1, v11
	v_mul_f32_e32 v18, v19, v18
	v_mul_f32_e32 v17, v17, v18
	v_fma_f32 v18, v17, v0, v0
	v_rcp_f32_e32 v19, v18
	v_sub_f32_e32 v50, v18, v0
	v_fma_f32 v0, v17, v0, -v50
	v_cmp_eq_u32_e32 vcc, 0, v11
	v_fma_f32 v17, v18, -v19, 1.0
	v_fma_f32 v0, v0, -v19, v17
	v_fma_f32 v0, v0, -v19, -v19
	v_cndmask_b32_e32 v0, v0, v18, vcc
	v_xor_b32_e32 v6, v6, v5
	v_xor_b32_e32 v0, v6, v0
	v_cmp_class_f32_e64 vcc, v5, s81
	v_cndmask_b32_e32 v0, v46, v0, vcc
	s_waitcnt lgkmcnt(0)
	v_mov_b32_e32 v5, s30
	v_fma_f32 v0, s31, v0, v5
	v_bfe_u32 v5, v0, 16, 1
	v_add3_u32 v5, v0, v5, s82
	v_lshrrev_b32_e32 v5, 16, v5
	v_cmp_o_f32_e32 vcc, v0, v0
	v_cndmask_b32_e32 v0, v47, v5, vcc
	global_store_short v10, v0, s[28:29]
.LBB15_39:                              ;   in Loop: Header=BB15_9 Depth=1
	s_or_b64 exec, exec, s[56:57]
	v_mov_b32_e32 v0, s61
	v_add_co_u32_e32 v18, vcc, s33, v14
	v_addc_co_u32_e32 v19, vcc, v15, v0, vcc
	v_cmp_gt_i64_e32 vcc, s[24:25], v[18:19]
	s_and_saveexec_b64 s[56:57], vcc
	s_cbranch_execz .LBB15_59
; %bb.40:                               ;   in Loop: Header=BB15_9 Depth=1
	s_and_b64 vcc, exec, s[0:1]
	s_cbranch_vccnz .LBB15_46
; %bb.41:                               ;   in Loop: Header=BB15_9 Depth=1
	s_andn2_b64 vcc, exec, s[42:43]
	s_cbranch_vccnz .LBB15_47
; %bb.42:                               ;   in Loop: Header=BB15_9 Depth=1
	s_mov_b32 s4, 0
	s_andn2_b64 vcc, exec, s[50:51]
	v_mov_b32_e32 v10, 0
	s_cbranch_vccnz .LBB15_48
; %bb.43:                               ;   in Loop: Header=BB15_9 Depth=1
	s_mov_b32 s83, 0
	v_mov_b32_e32 v10, 0
	s_mov_b64 s[2:3], s[34:35]
	s_mov_b64 s[58:59], s[44:45]
	v_mov_b32_e32 v0, v18
.LBB15_44:                              ;   Parent Loop BB15_9 Depth=1
                                        ; =>  This Inner Loop Header: Depth=2
	s_load_dwordx8 s[16:23], s[2:3], 0x4
	s_load_dwordx4 s[4:7], s[2:3], 0x24
	s_load_dwordx4 s[36:39], s[58:59], 0x0
	s_add_u32 s2, s2, 48
	s_addc_u32 s3, s3, 0
	s_waitcnt lgkmcnt(0)
	v_mul_hi_u32 v5, s17, v0
	v_add_u32_e32 v5, v0, v5
	v_lshrrev_b32_e32 v5, s18, v5
	v_mul_lo_u32 v6, v5, s16
	v_mul_hi_u32 v11, s20, v5
	v_sub_u32_e32 v0, v0, v6
	v_add_u32_e32 v6, v5, v11
	v_lshrrev_b32_e32 v6, s21, v6
	v_mul_lo_u32 v11, v6, s19
	v_mul_hi_u32 v17, s23, v6
	v_sub_u32_e32 v5, v5, v11
	v_add_u32_e32 v11, v6, v17
	v_mul_lo_u32 v0, v0, s36
	v_mul_lo_u32 v5, v5, s37
	v_lshrrev_b32_e32 v11, s4, v11
	v_add3_u32 v5, v0, v10, v5
	v_mul_lo_u32 v0, v11, s22
	v_mul_hi_u32 v10, s6, v11
	v_sub_u32_e32 v0, v6, v0
	v_add_u32_e32 v6, v11, v10
	v_mul_lo_u32 v10, v0, s38
	v_lshrrev_b32_e32 v0, s7, v6
	s_add_i32 s83, s83, 4
	v_mul_lo_u32 v6, v0, s5
	s_add_u32 s58, s58, 16
	v_sub_u32_e32 v6, v11, v6
	s_addc_u32 s59, s59, 0
	v_mul_lo_u32 v6, v6, s39
	s_cmp_eq_u32 s67, s83
	v_add3_u32 v10, v10, v5, v6
	s_cbranch_scc0 .LBB15_44
; %bb.45:                               ;   in Loop: Header=BB15_9 Depth=1
	s_mov_b32 s4, s67
	s_andn2_b64 vcc, exec, s[54:55]
	s_cbranch_vccz .LBB15_49
	s_branch .LBB15_51
.LBB15_46:                              ;   in Loop: Header=BB15_9 Depth=1
                                        ; implicit-def: $vgpr10
	s_branch .LBB15_52
.LBB15_47:                              ;   in Loop: Header=BB15_9 Depth=1
	v_mov_b32_e32 v10, 0
	s_branch .LBB15_51
.LBB15_48:                              ;   in Loop: Header=BB15_9 Depth=1
	v_mov_b32_e32 v0, v18
	s_andn2_b64 vcc, exec, s[54:55]
	s_cbranch_vccnz .LBB15_51
.LBB15_49:                              ;   in Loop: Header=BB15_9 Depth=1
	s_lshl_b32 s2, s4, 2
	s_add_u32 s2, s44, s2
	s_addc_u32 s3, s45, 0
	s_mul_i32 s4, s4, 12
	s_add_u32 s4, s34, s4
	s_addc_u32 s5, s35, 0
	s_mov_b32 s6, s66
.LBB15_50:                              ;   Parent Loop BB15_9 Depth=1
                                        ; =>  This Inner Loop Header: Depth=2
	s_load_dwordx2 s[16:17], s[4:5], 0x4
	s_load_dword s7, s[4:5], 0xc
	s_load_dword s18, s[2:3], 0x0
	s_add_u32 s4, s4, 12
	s_addc_u32 s5, s5, 0
	s_waitcnt lgkmcnt(0)
	v_mul_hi_u32 v5, s17, v0
	v_add_u32_e32 v5, v0, v5
	v_lshrrev_b32_e32 v5, s7, v5
	s_add_u32 s2, s2, 4
	v_mul_lo_u32 v6, v5, s16
	s_addc_u32 s3, s3, 0
	s_add_i32 s6, s6, -1
	v_sub_u32_e32 v6, v0, v6
	s_cmp_lg_u32 s6, 0
	v_mov_b32_e32 v0, v5
	v_mad_u64_u32 v[10:11], s[16:17], v6, s18, v[10:11]
	s_cbranch_scc1 .LBB15_50
.LBB15_51:                              ;   in Loop: Header=BB15_9 Depth=1
	s_cbranch_execnz .LBB15_54
.LBB15_52:                              ;   in Loop: Header=BB15_9 Depth=1
	v_mul_hi_u32 v0, v18, s10
	v_add_u32_e32 v0, v0, v18
	v_lshrrev_b32_e32 v0, s11, v0
	v_mul_lo_u32 v5, v0, s9
	v_sub_u32_e32 v5, v18, v5
	s_andn2_b64 vcc, exec, s[46:47]
	s_waitcnt lgkmcnt(0)
	v_mul_lo_u32 v10, v5, s48
	s_cbranch_vccnz .LBB15_54
; %bb.53:                               ;   in Loop: Header=BB15_9 Depth=1
	v_mul_hi_u32 v5, s8, v0
	v_add_u32_e32 v5, v0, v5
	v_lshrrev_b32_e32 v5, s14, v5
	v_mul_lo_u32 v5, v5, s12
	v_sub_u32_e32 v0, v0, v5
	v_mad_u64_u32 v[10:11], s[2:3], v0, s49, v[10:11]
.LBB15_54:                              ;   in Loop: Header=BB15_9 Depth=1
	v_cvt_f32_u32_e32 v0, v7
	v_mov_b32_e32 v5, 0x2f800000
                                        ; implicit-def: $vgpr7
	v_fmac_f32_e32 v5, 0x2f800000, v0
	v_cmp_nlt_f32_e32 vcc, s68, v5
	v_cndmask_b32_e32 v0, v42, v5, vcc
	v_cmp_ngt_f32_e32 vcc, s69, v0
	v_cndmask_b32_e32 v0, v43, v0, vcc
	v_add_f32_e32 v0, -0.5, v0
	v_mul_f32_e32 v5, 0x40490fdb, v0
	v_and_b32_e32 v6, 0x7fffffff, v5
	v_cmp_nlt_f32_e64 s[2:3], |v5|, s70
                                        ; implicit-def: $vgpr0
	s_and_saveexec_b64 s[4:5], s[2:3]
	s_xor_b64 s[16:17], exec, s[4:5]
	s_cbranch_execz .LBB15_56
; %bb.55:                               ;   in Loop: Header=BB15_9 Depth=1
	v_lshrrev_b32_e32 v0, 23, v6
	v_add_u32_e32 v0, 0xffffff88, v0
	v_cmp_lt_u32_e32 vcc, 63, v0
	v_cndmask_b32_e32 v7, 0, v44, vcc
	v_add_u32_e32 v0, v7, v0
	v_cmp_lt_u32_e64 s[2:3], 31, v0
	v_cndmask_b32_e64 v7, 0, v45, s[2:3]
	v_add_u32_e32 v0, v7, v0
	v_cmp_lt_u32_e64 s[4:5], 31, v0
	v_cndmask_b32_e64 v7, 0, v45, s[4:5]
	v_add_u32_e32 v7, v7, v0
	v_and_b32_e32 v0, 0x7fffff, v6
	v_or_b32_e32 v11, 0x800000, v0
	v_mad_u64_u32 v[18:19], s[6:7], v11, s71, 0
	v_mov_b32_e32 v0, v19
	v_mad_u64_u32 v[50:51], s[6:7], v11, s72, v[0:1]
	v_mov_b32_e32 v0, v51
	;; [unrolled: 2-line block ×6, first 2 shown]
	v_mad_u64_u32 v[60:61], s[6:7], v11, s77, v[0:1]
	v_cndmask_b32_e32 v17, v58, v54, vcc
	v_cndmask_b32_e32 v0, v60, v56, vcc
	v_cndmask_b32_e32 v19, v61, v58, vcc
	v_cndmask_b32_e64 v11, v0, v17, s[2:3]
	v_cndmask_b32_e64 v0, v19, v0, s[2:3]
	v_cndmask_b32_e32 v19, v56, v52, vcc
	v_cndmask_b32_e64 v17, v17, v19, s[2:3]
	v_cndmask_b32_e64 v0, v0, v11, s[4:5]
	;; [unrolled: 1-line block ×3, first 2 shown]
	v_sub_u32_e32 v51, 32, v7
	v_alignbit_b32 v53, v0, v11, v51
	v_cmp_eq_u32_e64 s[6:7], 0, v7
	v_cndmask_b32_e64 v7, v53, v0, s[6:7]
	v_cndmask_b32_e32 v0, v54, v50, vcc
	v_cndmask_b32_e64 v19, v19, v0, s[2:3]
	v_cndmask_b32_e64 v17, v17, v19, s[4:5]
	v_alignbit_b32 v50, v11, v17, v51
	v_cndmask_b32_e32 v18, v52, v18, vcc
	v_cndmask_b32_e64 v11, v50, v11, s[6:7]
	v_bfe_u32 v54, v7, 29, 1
	v_cndmask_b32_e64 v0, v0, v18, s[2:3]
	v_alignbit_b32 v50, v7, v11, 30
	v_sub_u32_e32 v55, 0, v54
	v_cndmask_b32_e64 v0, v19, v0, s[4:5]
	v_xor_b32_e32 v56, v50, v55
	v_alignbit_b32 v18, v17, v0, v51
	v_cndmask_b32_e64 v17, v18, v17, s[6:7]
	v_ffbh_u32_e32 v18, v56
	v_add_u32_e32 v18, 1, v18
	v_cmp_ne_u32_e32 vcc, v50, v55
	v_alignbit_b32 v11, v11, v17, 30
	v_cndmask_b32_e32 v18, 33, v18, vcc
	v_alignbit_b32 v0, v17, v0, 30
	v_xor_b32_e32 v11, v11, v55
	v_sub_u32_e32 v19, 32, v18
	v_xor_b32_e32 v0, v0, v55
	v_alignbit_b32 v50, v56, v11, v19
	v_alignbit_b32 v0, v11, v0, v19
	;; [unrolled: 1-line block ×3, first 2 shown]
	v_ffbh_u32_e32 v17, v11
	v_min_u32_e32 v17, 32, v17
	v_lshrrev_b32_e32 v53, 29, v7
	v_sub_u32_e32 v19, 31, v17
	v_alignbit_b32 v0, v11, v0, v19
	v_lshlrev_b32_e32 v11, 31, v53
	v_or_b32_e32 v19, 0x33800000, v11
	v_add_lshl_u32 v17, v17, v18, 23
	v_lshrrev_b32_e32 v0, 9, v0
	v_sub_u32_e32 v17, v19, v17
	v_or_b32_e32 v0, v17, v0
	v_alignbit_b32 v17, v18, v50, 9
	v_or_b32_e32 v11, v17, v11
	v_xor_b32_e32 v11, 1.0, v11
	v_mul_f32_e32 v17, 0x3fc90fda, v11
	v_fma_f32 v18, v11, s78, -v17
	v_fmac_f32_e32 v18, 0x33a22168, v11
	v_fmac_f32_e32 v18, 0x3fc90fda, v0
	v_lshrrev_b32_e32 v7, 30, v7
	v_add_f32_e32 v0, v17, v18
	v_add_u32_e32 v7, v54, v7
.LBB15_56:                              ;   in Loop: Header=BB15_9 Depth=1
	s_andn2_saveexec_b64 s[2:3], s[16:17]
; %bb.57:                               ;   in Loop: Header=BB15_9 Depth=1
	v_mul_f32_e64 v0, |v5|, s79
	v_rndne_f32_e32 v11, v0
	v_cvt_i32_f32_e32 v7, v11
	v_fma_f32 v0, v11, s80, |v5|
	v_fmac_f32_e32 v0, 0xb3a22168, v11
	v_fmac_f32_e32 v0, 0xa7c234c4, v11
; %bb.58:                               ;   in Loop: Header=BB15_9 Depth=1
	s_or_b64 exec, exec, s[2:3]
	v_mul_f32_e32 v11, v0, v0
	v_mov_b32_e32 v17, 0xbf039337
	v_fmac_f32_e32 v17, 0x3c971480, v11
	v_fma_f32 v17, v11, v17, v41
	v_rcp_f32_e32 v17, v17
	v_mov_b32_e32 v18, 0x3ec54587
	v_fmac_f32_e32 v18, 0xbc8cedd3, v11
	v_and_b32_e32 v7, 1, v7
	v_mul_f32_e32 v17, v18, v17
	v_mul_f32_e32 v11, v11, v17
	v_fma_f32 v17, v11, v0, v0
	v_rcp_f32_e32 v18, v17
	v_sub_f32_e32 v19, v17, v0
	v_fma_f32 v0, v11, v0, -v19
	v_cmp_eq_u32_e32 vcc, 0, v7
	v_fma_f32 v11, v17, -v18, 1.0
	v_fma_f32 v0, v0, -v18, v11
	v_fma_f32 v0, v0, -v18, -v18
	v_cndmask_b32_e32 v0, v0, v17, vcc
	v_xor_b32_e32 v6, v6, v5
	v_xor_b32_e32 v0, v6, v0
	v_cmp_class_f32_e64 vcc, v5, s81
	v_cndmask_b32_e32 v0, v46, v0, vcc
	s_waitcnt lgkmcnt(0)
	v_mov_b32_e32 v5, s30
	v_fma_f32 v0, s31, v0, v5
	v_bfe_u32 v5, v0, 16, 1
	v_add3_u32 v5, v0, v5, s82
	v_lshrrev_b32_e32 v5, 16, v5
	v_cmp_o_f32_e32 vcc, v0, v0
	v_cndmask_b32_e32 v0, v47, v5, vcc
	global_store_short v10, v0, s[28:29]
.LBB15_59:                              ;   in Loop: Header=BB15_9 Depth=1
	s_or_b64 exec, exec, s[56:57]
	v_mov_b32_e32 v0, s15
	v_add_co_u32_e32 v10, vcc, s13, v14
	v_addc_co_u32_e32 v11, vcc, v15, v0, vcc
	v_cmp_gt_i64_e32 vcc, s[24:25], v[10:11]
	s_and_saveexec_b64 s[56:57], vcc
	s_cbranch_execz .LBB15_79
; %bb.60:                               ;   in Loop: Header=BB15_9 Depth=1
	s_and_b64 vcc, exec, s[0:1]
	s_cbranch_vccnz .LBB15_66
; %bb.61:                               ;   in Loop: Header=BB15_9 Depth=1
	s_andn2_b64 vcc, exec, s[42:43]
	s_cbranch_vccnz .LBB15_67
; %bb.62:                               ;   in Loop: Header=BB15_9 Depth=1
	s_mov_b32 s4, 0
	s_andn2_b64 vcc, exec, s[50:51]
	v_mov_b32_e32 v6, 0
	s_cbranch_vccnz .LBB15_68
; %bb.63:                               ;   in Loop: Header=BB15_9 Depth=1
	s_mov_b32 s83, 0
	v_mov_b32_e32 v6, 0
	s_mov_b64 s[2:3], s[34:35]
	s_mov_b64 s[58:59], s[44:45]
	v_mov_b32_e32 v0, v10
.LBB15_64:                              ;   Parent Loop BB15_9 Depth=1
                                        ; =>  This Inner Loop Header: Depth=2
	s_load_dwordx8 s[16:23], s[2:3], 0x4
	s_load_dwordx4 s[4:7], s[2:3], 0x24
	s_load_dwordx4 s[36:39], s[58:59], 0x0
	s_add_u32 s2, s2, 48
	s_addc_u32 s3, s3, 0
	s_waitcnt lgkmcnt(0)
	v_mul_hi_u32 v5, s17, v0
	v_add_u32_e32 v5, v0, v5
	v_lshrrev_b32_e32 v5, s18, v5
	v_mul_lo_u32 v7, v5, s16
	v_mul_hi_u32 v11, s20, v5
	v_sub_u32_e32 v0, v0, v7
	v_add_u32_e32 v7, v5, v11
	v_lshrrev_b32_e32 v7, s21, v7
	v_mul_lo_u32 v11, v7, s19
	v_mul_hi_u32 v17, s23, v7
	v_sub_u32_e32 v5, v5, v11
	v_add_u32_e32 v11, v7, v17
	v_mul_lo_u32 v0, v0, s36
	v_mul_lo_u32 v5, v5, s37
	v_lshrrev_b32_e32 v11, s4, v11
	v_add3_u32 v5, v0, v6, v5
	v_mul_lo_u32 v0, v11, s22
	v_mul_hi_u32 v6, s6, v11
	v_sub_u32_e32 v0, v7, v0
	v_add_u32_e32 v6, v11, v6
	v_mul_lo_u32 v7, v0, s38
	v_lshrrev_b32_e32 v0, s7, v6
	s_add_i32 s83, s83, 4
	v_mul_lo_u32 v6, v0, s5
	s_add_u32 s58, s58, 16
	v_sub_u32_e32 v6, v11, v6
	s_addc_u32 s59, s59, 0
	v_mul_lo_u32 v6, v6, s39
	s_cmp_eq_u32 s67, s83
	v_add3_u32 v6, v7, v5, v6
	s_cbranch_scc0 .LBB15_64
; %bb.65:                               ;   in Loop: Header=BB15_9 Depth=1
	s_mov_b32 s4, s67
	s_andn2_b64 vcc, exec, s[54:55]
	s_cbranch_vccz .LBB15_69
	s_branch .LBB15_71
.LBB15_66:                              ;   in Loop: Header=BB15_9 Depth=1
                                        ; implicit-def: $vgpr6
	s_branch .LBB15_72
.LBB15_67:                              ;   in Loop: Header=BB15_9 Depth=1
	v_mov_b32_e32 v6, 0
	s_branch .LBB15_71
.LBB15_68:                              ;   in Loop: Header=BB15_9 Depth=1
	v_mov_b32_e32 v0, v10
	s_andn2_b64 vcc, exec, s[54:55]
	s_cbranch_vccnz .LBB15_71
.LBB15_69:                              ;   in Loop: Header=BB15_9 Depth=1
	s_lshl_b32 s2, s4, 2
	s_add_u32 s2, s44, s2
	s_addc_u32 s3, s45, 0
	s_mul_i32 s4, s4, 12
	s_add_u32 s4, s34, s4
	s_addc_u32 s5, s35, 0
	s_mov_b32 s6, s66
.LBB15_70:                              ;   Parent Loop BB15_9 Depth=1
                                        ; =>  This Inner Loop Header: Depth=2
	s_load_dwordx2 s[16:17], s[4:5], 0x4
	s_load_dword s7, s[4:5], 0xc
	s_load_dword s18, s[2:3], 0x0
	s_add_u32 s4, s4, 12
	s_addc_u32 s5, s5, 0
	s_waitcnt lgkmcnt(0)
	v_mul_hi_u32 v5, s17, v0
	v_add_u32_e32 v5, v0, v5
	v_lshrrev_b32_e32 v5, s7, v5
	s_add_u32 s2, s2, 4
	v_mul_lo_u32 v7, v5, s16
	s_addc_u32 s3, s3, 0
	s_add_i32 s6, s6, -1
	v_sub_u32_e32 v7, v0, v7
	s_cmp_lg_u32 s6, 0
	v_mov_b32_e32 v0, v5
	v_mad_u64_u32 v[6:7], s[16:17], v7, s18, v[6:7]
	s_cbranch_scc1 .LBB15_70
.LBB15_71:                              ;   in Loop: Header=BB15_9 Depth=1
	s_cbranch_execnz .LBB15_74
.LBB15_72:                              ;   in Loop: Header=BB15_9 Depth=1
	v_mul_hi_u32 v0, v10, s10
	v_add_u32_e32 v0, v0, v10
	v_lshrrev_b32_e32 v0, s11, v0
	v_mul_lo_u32 v5, v0, s9
	v_sub_u32_e32 v5, v10, v5
	s_andn2_b64 vcc, exec, s[46:47]
	s_waitcnt lgkmcnt(0)
	v_mul_lo_u32 v6, v5, s48
	s_cbranch_vccnz .LBB15_74
; %bb.73:                               ;   in Loop: Header=BB15_9 Depth=1
	v_mul_hi_u32 v5, s8, v0
	v_add_u32_e32 v5, v0, v5
	v_lshrrev_b32_e32 v5, s14, v5
	v_mul_lo_u32 v5, v5, s12
	v_sub_u32_e32 v0, v0, v5
	v_mad_u64_u32 v[6:7], s[2:3], v0, s49, v[6:7]
.LBB15_74:                              ;   in Loop: Header=BB15_9 Depth=1
	v_cvt_f32_u32_e32 v0, v8
	v_mov_b32_e32 v5, 0x2f800000
                                        ; implicit-def: $vgpr8
	v_fmac_f32_e32 v5, 0x2f800000, v0
	v_cmp_nlt_f32_e32 vcc, s68, v5
	v_cndmask_b32_e32 v0, v42, v5, vcc
	v_cmp_ngt_f32_e32 vcc, s69, v0
	v_cndmask_b32_e32 v0, v43, v0, vcc
	v_add_f32_e32 v0, -0.5, v0
	v_mul_f32_e32 v5, 0x40490fdb, v0
	v_and_b32_e32 v7, 0x7fffffff, v5
	v_cmp_nlt_f32_e64 s[2:3], |v5|, s70
                                        ; implicit-def: $vgpr0
	s_and_saveexec_b64 s[4:5], s[2:3]
	s_xor_b64 s[16:17], exec, s[4:5]
	s_cbranch_execz .LBB15_76
; %bb.75:                               ;   in Loop: Header=BB15_9 Depth=1
	v_lshrrev_b32_e32 v0, 23, v7
	v_add_u32_e32 v0, 0xffffff88, v0
	v_cmp_lt_u32_e32 vcc, 63, v0
	v_cndmask_b32_e32 v8, 0, v44, vcc
	v_add_u32_e32 v0, v8, v0
	v_cmp_lt_u32_e64 s[2:3], 31, v0
	v_cndmask_b32_e64 v8, 0, v45, s[2:3]
	v_add_u32_e32 v0, v8, v0
	v_cmp_lt_u32_e64 s[4:5], 31, v0
	v_cndmask_b32_e64 v8, 0, v45, s[4:5]
	v_add_u32_e32 v8, v8, v0
	v_and_b32_e32 v0, 0x7fffff, v7
	v_or_b32_e32 v17, 0x800000, v0
	v_mad_u64_u32 v[10:11], s[6:7], v17, s71, 0
	v_mov_b32_e32 v0, v11
	v_mad_u64_u32 v[18:19], s[6:7], v17, s72, v[0:1]
	v_mov_b32_e32 v0, v19
	v_mad_u64_u32 v[50:51], s[6:7], v17, s73, v[0:1]
	v_mov_b32_e32 v0, v51
	v_mad_u64_u32 v[52:53], s[6:7], v17, s74, v[0:1]
	v_mov_b32_e32 v0, v53
	v_mad_u64_u32 v[54:55], s[6:7], v17, s75, v[0:1]
	v_mov_b32_e32 v0, v55
	v_mad_u64_u32 v[56:57], s[6:7], v17, s76, v[0:1]
	v_mov_b32_e32 v0, v57
	v_mad_u64_u32 v[58:59], s[6:7], v17, s77, v[0:1]
	v_cndmask_b32_e32 v11, v56, v52, vcc
	v_cndmask_b32_e32 v0, v58, v54, vcc
	;; [unrolled: 1-line block ×3, first 2 shown]
	v_cndmask_b32_e64 v17, v0, v11, s[2:3]
	v_cndmask_b32_e64 v0, v19, v0, s[2:3]
	v_cndmask_b32_e32 v19, v54, v50, vcc
	v_cndmask_b32_e64 v11, v11, v19, s[2:3]
	v_cndmask_b32_e64 v0, v0, v17, s[4:5]
	;; [unrolled: 1-line block ×3, first 2 shown]
	v_sub_u32_e32 v51, 32, v8
	v_alignbit_b32 v53, v0, v17, v51
	v_cmp_eq_u32_e64 s[6:7], 0, v8
	v_cndmask_b32_e64 v8, v53, v0, s[6:7]
	v_cndmask_b32_e32 v0, v52, v18, vcc
	v_cndmask_b32_e64 v18, v19, v0, s[2:3]
	v_cndmask_b32_e64 v11, v11, v18, s[4:5]
	v_cndmask_b32_e32 v10, v50, v10, vcc
	v_alignbit_b32 v19, v17, v11, v51
	v_cndmask_b32_e64 v0, v0, v10, s[2:3]
	v_cndmask_b32_e64 v17, v19, v17, s[6:7]
	v_bfe_u32 v53, v8, 29, 1
	v_cndmask_b32_e64 v0, v18, v0, s[4:5]
	v_alignbit_b32 v19, v8, v17, 30
	v_sub_u32_e32 v54, 0, v53
	v_alignbit_b32 v10, v11, v0, v51
	v_xor_b32_e32 v55, v19, v54
	v_cndmask_b32_e64 v10, v10, v11, s[6:7]
	v_alignbit_b32 v11, v17, v10, 30
	v_ffbh_u32_e32 v17, v55
	v_add_u32_e32 v17, 1, v17
	v_cmp_ne_u32_e32 vcc, v19, v54
	v_cndmask_b32_e32 v17, 33, v17, vcc
	v_alignbit_b32 v0, v10, v0, 30
	v_xor_b32_e32 v11, v11, v54
	v_sub_u32_e32 v18, 32, v17
	v_xor_b32_e32 v0, v0, v54
	v_alignbit_b32 v19, v55, v11, v18
	v_alignbit_b32 v0, v11, v0, v18
	;; [unrolled: 1-line block ×3, first 2 shown]
	v_ffbh_u32_e32 v11, v10
	v_min_u32_e32 v11, 32, v11
	v_lshrrev_b32_e32 v52, 29, v8
	v_sub_u32_e32 v18, 31, v11
	v_alignbit_b32 v0, v10, v0, v18
	v_lshlrev_b32_e32 v10, 31, v52
	v_or_b32_e32 v18, 0x33800000, v10
	v_add_lshl_u32 v11, v11, v17, 23
	v_lshrrev_b32_e32 v0, 9, v0
	v_sub_u32_e32 v11, v18, v11
	v_or_b32_e32 v0, v11, v0
	v_alignbit_b32 v11, v17, v19, 9
	v_or_b32_e32 v10, v11, v10
	v_xor_b32_e32 v10, 1.0, v10
	v_mul_f32_e32 v11, 0x3fc90fda, v10
	v_fma_f32 v17, v10, s78, -v11
	v_fmac_f32_e32 v17, 0x33a22168, v10
	v_fmac_f32_e32 v17, 0x3fc90fda, v0
	v_lshrrev_b32_e32 v8, 30, v8
	v_add_f32_e32 v0, v11, v17
	v_add_u32_e32 v8, v53, v8
.LBB15_76:                              ;   in Loop: Header=BB15_9 Depth=1
	s_andn2_saveexec_b64 s[2:3], s[16:17]
; %bb.77:                               ;   in Loop: Header=BB15_9 Depth=1
	v_mul_f32_e64 v0, |v5|, s79
	v_rndne_f32_e32 v10, v0
	v_cvt_i32_f32_e32 v8, v10
	v_fma_f32 v0, v10, s80, |v5|
	v_fmac_f32_e32 v0, 0xb3a22168, v10
	v_fmac_f32_e32 v0, 0xa7c234c4, v10
; %bb.78:                               ;   in Loop: Header=BB15_9 Depth=1
	s_or_b64 exec, exec, s[2:3]
	v_mul_f32_e32 v10, v0, v0
	v_mov_b32_e32 v11, 0xbf039337
	v_fmac_f32_e32 v11, 0x3c971480, v10
	v_fma_f32 v11, v10, v11, v41
	v_rcp_f32_e32 v11, v11
	v_mov_b32_e32 v17, 0x3ec54587
	v_fmac_f32_e32 v17, 0xbc8cedd3, v10
	v_and_b32_e32 v8, 1, v8
	v_mul_f32_e32 v11, v17, v11
	v_mul_f32_e32 v10, v10, v11
	v_fma_f32 v11, v10, v0, v0
	v_rcp_f32_e32 v17, v11
	v_sub_f32_e32 v18, v11, v0
	v_fma_f32 v0, v10, v0, -v18
	v_cmp_eq_u32_e32 vcc, 0, v8
	v_fma_f32 v10, v11, -v17, 1.0
	v_fma_f32 v0, v0, -v17, v10
	v_fma_f32 v0, v0, -v17, -v17
	v_cndmask_b32_e32 v0, v0, v11, vcc
	v_xor_b32_e32 v7, v7, v5
	v_xor_b32_e32 v0, v7, v0
	v_cmp_class_f32_e64 vcc, v5, s81
	v_cndmask_b32_e32 v0, v46, v0, vcc
	s_waitcnt lgkmcnt(0)
	v_mov_b32_e32 v5, s30
	v_fma_f32 v0, s31, v0, v5
	v_bfe_u32 v5, v0, 16, 1
	v_add3_u32 v5, v0, v5, s82
	v_lshrrev_b32_e32 v5, 16, v5
	v_cmp_o_f32_e32 vcc, v0, v0
	v_cndmask_b32_e32 v0, v47, v5, vcc
	global_store_short v6, v0, s[28:29]
.LBB15_79:                              ;   in Loop: Header=BB15_9 Depth=1
	s_or_b64 exec, exec, s[56:57]
	v_mov_b32_e32 v0, s65
	v_add_co_u32_e32 v10, vcc, s64, v14
	v_addc_co_u32_e32 v11, vcc, v15, v0, vcc
	v_cmp_gt_i64_e32 vcc, s[24:25], v[10:11]
	s_and_saveexec_b64 s[36:37], vcc
	s_cbranch_execz .LBB15_8
; %bb.80:                               ;   in Loop: Header=BB15_9 Depth=1
	s_and_b64 vcc, exec, s[0:1]
	s_cbranch_vccnz .LBB15_86
; %bb.81:                               ;   in Loop: Header=BB15_9 Depth=1
	s_andn2_b64 vcc, exec, s[42:43]
	s_cbranch_vccnz .LBB15_87
; %bb.82:                               ;   in Loop: Header=BB15_9 Depth=1
	s_mov_b32 s2, 0
	s_andn2_b64 vcc, exec, s[50:51]
	v_mov_b32_e32 v6, 0
	s_cbranch_vccnz .LBB15_88
; %bb.83:                               ;   in Loop: Header=BB15_9 Depth=1
	s_mov_b32 s58, 0
	v_mov_b32_e32 v6, 0
	s_mov_b64 s[38:39], s[34:35]
	s_mov_b64 s[56:57], s[44:45]
	v_mov_b32_e32 v0, v10
.LBB15_84:                              ;   Parent Loop BB15_9 Depth=1
                                        ; =>  This Inner Loop Header: Depth=2
	s_load_dwordx8 s[0:7], s[38:39], 0x4
	s_load_dwordx4 s[16:19], s[38:39], 0x24
	s_load_dwordx4 s[20:23], s[56:57], 0x0
	s_add_u32 s38, s38, 48
	s_addc_u32 s39, s39, 0
	s_waitcnt lgkmcnt(0)
	v_mul_hi_u32 v5, s1, v0
	v_add_u32_e32 v5, v0, v5
	v_lshrrev_b32_e32 v5, s2, v5
	v_mul_lo_u32 v7, v5, s0
	v_mul_hi_u32 v8, s4, v5
	v_sub_u32_e32 v0, v0, v7
	v_add_u32_e32 v7, v5, v8
	v_lshrrev_b32_e32 v7, s5, v7
	v_mul_lo_u32 v8, v7, s3
	v_mul_hi_u32 v11, s7, v7
	v_sub_u32_e32 v5, v5, v8
	v_add_u32_e32 v8, v7, v11
	v_mul_lo_u32 v0, v0, s20
	v_mul_lo_u32 v5, v5, s21
	v_lshrrev_b32_e32 v8, s16, v8
	v_add3_u32 v5, v0, v6, v5
	v_mul_lo_u32 v0, v8, s6
	v_mul_hi_u32 v6, s18, v8
	v_sub_u32_e32 v0, v7, v0
	v_add_u32_e32 v6, v8, v6
	v_mul_lo_u32 v7, v0, s22
	v_lshrrev_b32_e32 v0, s19, v6
	s_add_i32 s58, s58, 4
	v_mul_lo_u32 v6, v0, s17
	s_add_u32 s56, s56, 16
	v_sub_u32_e32 v6, v8, v6
	s_addc_u32 s57, s57, 0
	v_mul_lo_u32 v6, v6, s23
	s_cmp_eq_u32 s67, s58
	v_add3_u32 v6, v7, v5, v6
	s_cbranch_scc0 .LBB15_84
; %bb.85:                               ;   in Loop: Header=BB15_9 Depth=1
	s_mov_b32 s2, s67
	s_andn2_b64 vcc, exec, s[54:55]
	s_cbranch_vccz .LBB15_89
	s_branch .LBB15_91
.LBB15_86:                              ;   in Loop: Header=BB15_9 Depth=1
                                        ; implicit-def: $vgpr6
	s_branch .LBB15_92
.LBB15_87:                              ;   in Loop: Header=BB15_9 Depth=1
	v_mov_b32_e32 v6, 0
	s_branch .LBB15_91
.LBB15_88:                              ;   in Loop: Header=BB15_9 Depth=1
	v_mov_b32_e32 v0, v10
	s_andn2_b64 vcc, exec, s[54:55]
	s_cbranch_vccnz .LBB15_91
.LBB15_89:                              ;   in Loop: Header=BB15_9 Depth=1
	s_lshl_b32 s0, s2, 2
	s_add_u32 s0, s44, s0
	s_addc_u32 s1, s45, 0
	s_mul_i32 s2, s2, 12
	s_add_u32 s2, s34, s2
	s_addc_u32 s3, s35, 0
	s_mov_b32 s4, s66
.LBB15_90:                              ;   Parent Loop BB15_9 Depth=1
                                        ; =>  This Inner Loop Header: Depth=2
	s_load_dwordx2 s[6:7], s[2:3], 0x4
	s_load_dword s5, s[2:3], 0xc
	s_load_dword s16, s[0:1], 0x0
	s_add_u32 s2, s2, 12
	s_addc_u32 s3, s3, 0
	s_waitcnt lgkmcnt(0)
	v_mul_hi_u32 v5, s7, v0
	v_add_u32_e32 v5, v0, v5
	v_lshrrev_b32_e32 v5, s5, v5
	s_add_u32 s0, s0, 4
	v_mul_lo_u32 v7, v5, s6
	s_addc_u32 s1, s1, 0
	s_add_i32 s4, s4, -1
	v_sub_u32_e32 v7, v0, v7
	s_cmp_lg_u32 s4, 0
	v_mov_b32_e32 v0, v5
	v_mad_u64_u32 v[6:7], s[6:7], v7, s16, v[6:7]
	s_cbranch_scc1 .LBB15_90
.LBB15_91:                              ;   in Loop: Header=BB15_9 Depth=1
	s_cbranch_execnz .LBB15_94
.LBB15_92:                              ;   in Loop: Header=BB15_9 Depth=1
	v_mul_hi_u32 v0, v10, s10
	v_add_u32_e32 v0, v0, v10
	v_lshrrev_b32_e32 v0, s11, v0
	v_mul_lo_u32 v5, v0, s9
	v_sub_u32_e32 v5, v10, v5
	s_andn2_b64 vcc, exec, s[46:47]
	s_waitcnt lgkmcnt(0)
	v_mul_lo_u32 v6, v5, s48
	s_cbranch_vccnz .LBB15_94
; %bb.93:                               ;   in Loop: Header=BB15_9 Depth=1
	v_mul_hi_u32 v5, s8, v0
	v_add_u32_e32 v5, v0, v5
	v_lshrrev_b32_e32 v5, s14, v5
	v_mul_lo_u32 v5, v5, s12
	v_sub_u32_e32 v0, v0, v5
	v_mad_u64_u32 v[6:7], s[0:1], v0, s49, v[6:7]
.LBB15_94:                              ;   in Loop: Header=BB15_9 Depth=1
	v_cvt_f32_u32_e32 v0, v9
	v_mov_b32_e32 v5, 0x2f800000
                                        ; implicit-def: $vgpr8
	v_fmac_f32_e32 v5, 0x2f800000, v0
	v_cmp_nlt_f32_e32 vcc, s68, v5
	v_cndmask_b32_e32 v0, v42, v5, vcc
	v_cmp_ngt_f32_e32 vcc, s69, v0
	v_cndmask_b32_e32 v0, v43, v0, vcc
	v_add_f32_e32 v0, -0.5, v0
	v_mul_f32_e32 v5, 0x40490fdb, v0
	v_and_b32_e32 v7, 0x7fffffff, v5
	v_cmp_nlt_f32_e64 s[0:1], |v5|, s70
                                        ; implicit-def: $vgpr0
	s_and_saveexec_b64 s[2:3], s[0:1]
	s_xor_b64 s[6:7], exec, s[2:3]
	s_cbranch_execz .LBB15_96
; %bb.95:                               ;   in Loop: Header=BB15_9 Depth=1
	v_lshrrev_b32_e32 v0, 23, v7
	v_add_u32_e32 v0, 0xffffff88, v0
	v_cmp_lt_u32_e32 vcc, 63, v0
	v_cndmask_b32_e32 v8, 0, v44, vcc
	v_add_u32_e32 v0, v8, v0
	v_cmp_lt_u32_e64 s[0:1], 31, v0
	v_cndmask_b32_e64 v8, 0, v45, s[0:1]
	v_add_u32_e32 v0, v8, v0
	v_cmp_lt_u32_e64 s[2:3], 31, v0
	v_cndmask_b32_e64 v8, 0, v45, s[2:3]
	v_add_u32_e32 v17, v8, v0
	v_and_b32_e32 v0, 0x7fffff, v7
	v_or_b32_e32 v56, 0x800000, v0
	v_mad_u64_u32 v[8:9], s[4:5], v56, s71, 0
	v_mov_b32_e32 v0, v9
	v_mad_u64_u32 v[10:11], s[4:5], v56, s72, v[0:1]
	v_mov_b32_e32 v0, v11
	;; [unrolled: 2-line block ×6, first 2 shown]
	v_mad_u64_u32 v[56:57], s[4:5], v56, s77, v[0:1]
	v_cndmask_b32_e32 v9, v54, v50, vcc
	v_cndmask_b32_e32 v0, v56, v52, vcc
	;; [unrolled: 1-line block ×3, first 2 shown]
	v_cndmask_b32_e64 v11, v0, v9, s[0:1]
	v_cndmask_b32_e64 v0, v19, v0, s[0:1]
	v_cndmask_b32_e32 v19, v52, v18, vcc
	v_cndmask_b32_e64 v9, v9, v19, s[0:1]
	v_cndmask_b32_e64 v0, v0, v11, s[2:3]
	;; [unrolled: 1-line block ×3, first 2 shown]
	v_sub_u32_e32 v51, 32, v17
	v_alignbit_b32 v52, v0, v11, v51
	v_cmp_eq_u32_e64 s[4:5], 0, v17
	v_cndmask_b32_e64 v17, v52, v0, s[4:5]
	v_cndmask_b32_e32 v0, v50, v10, vcc
	v_cndmask_b32_e64 v10, v19, v0, s[0:1]
	v_cndmask_b32_e64 v9, v9, v10, s[2:3]
	v_alignbit_b32 v19, v11, v9, v51
	v_cndmask_b32_e64 v11, v19, v11, s[4:5]
	v_bfe_u32 v52, v17, 29, 1
	v_cndmask_b32_e32 v8, v18, v8, vcc
	v_alignbit_b32 v19, v17, v11, 30
	v_sub_u32_e32 v53, 0, v52
	v_cndmask_b32_e64 v0, v0, v8, s[0:1]
	v_xor_b32_e32 v54, v19, v53
	v_cndmask_b32_e64 v0, v10, v0, s[2:3]
	v_alignbit_b32 v8, v9, v0, v51
	v_ffbh_u32_e32 v10, v54
	v_cndmask_b32_e64 v8, v8, v9, s[4:5]
	v_add_u32_e32 v10, 1, v10
	v_cmp_ne_u32_e32 vcc, v19, v53
	v_alignbit_b32 v9, v11, v8, 30
	v_cndmask_b32_e32 v10, 33, v10, vcc
	v_alignbit_b32 v0, v8, v0, 30
	v_xor_b32_e32 v9, v9, v53
	v_sub_u32_e32 v11, 32, v10
	v_xor_b32_e32 v0, v0, v53
	v_alignbit_b32 v18, v54, v9, v11
	v_alignbit_b32 v0, v9, v0, v11
	;; [unrolled: 1-line block ×3, first 2 shown]
	v_ffbh_u32_e32 v9, v8
	v_min_u32_e32 v9, 32, v9
	v_lshrrev_b32_e32 v50, 29, v17
	v_sub_u32_e32 v11, 31, v9
	v_alignbit_b32 v0, v8, v0, v11
	v_lshlrev_b32_e32 v8, 31, v50
	v_or_b32_e32 v11, 0x33800000, v8
	v_add_lshl_u32 v9, v9, v10, 23
	v_lshrrev_b32_e32 v0, 9, v0
	v_sub_u32_e32 v9, v11, v9
	v_or_b32_e32 v0, v9, v0
	v_alignbit_b32 v9, v10, v18, 9
	v_or_b32_e32 v8, v9, v8
	v_xor_b32_e32 v8, 1.0, v8
	v_mul_f32_e32 v9, 0x3fc90fda, v8
	v_fma_f32 v10, v8, s78, -v9
	v_fmac_f32_e32 v10, 0x33a22168, v8
	v_fmac_f32_e32 v10, 0x3fc90fda, v0
	v_lshrrev_b32_e32 v8, 30, v17
	v_add_f32_e32 v0, v9, v10
	v_add_u32_e32 v8, v52, v8
.LBB15_96:                              ;   in Loop: Header=BB15_9 Depth=1
	s_andn2_saveexec_b64 s[0:1], s[6:7]
	s_cbranch_execz .LBB15_7
; %bb.97:                               ;   in Loop: Header=BB15_9 Depth=1
	v_mul_f32_e64 v0, |v5|, s79
	v_rndne_f32_e32 v9, v0
	v_cvt_i32_f32_e32 v8, v9
	v_fma_f32 v0, v9, s80, |v5|
	v_fmac_f32_e32 v0, 0xb3a22168, v9
	v_fmac_f32_e32 v0, 0xa7c234c4, v9
	s_branch .LBB15_7
.LBB15_98:
	s_endpgm
.LBB15_99:
                                        ; implicit-def: $sgpr2_sgpr3
	s_andn2_b64 vcc, exec, s[0:1]
	s_cbranch_vccz .LBB15_4
	s_branch .LBB15_5
	.section	.rodata,"a",@progbits
	.p2align	6, 0x0
	.amdhsa_kernel _ZN2at6native12_GLOBAL__N_143distribution_elementwise_grid_stride_kernelIfLi4EZNS0_9templates4cuda21uniform_and_transformIN3c108BFloat16EfPNS_17CUDAGeneratorImplEZZZNS4_13cauchy_kernelIS9_EEvRNS_18TensorIteratorBaseEddT_ENKUlvE_clEvENKUlvE2_clEvEUlfE_EEvSC_T1_T2_EUlP25hiprandStatePhilox4_32_10E0_ZNS1_27distribution_nullary_kernelIS7_f15HIP_vector_typeIfLj4EES9_SL_SG_EEvSC_SI_RKT3_T4_EUlifE0_EEvlNS_15PhiloxCudaStateESH_SI_
		.amdhsa_group_segment_fixed_size 0
		.amdhsa_private_segment_fixed_size 0
		.amdhsa_kernarg_size 584
		.amdhsa_user_sgpr_count 6
		.amdhsa_user_sgpr_private_segment_buffer 1
		.amdhsa_user_sgpr_dispatch_ptr 0
		.amdhsa_user_sgpr_queue_ptr 0
		.amdhsa_user_sgpr_kernarg_segment_ptr 1
		.amdhsa_user_sgpr_dispatch_id 0
		.amdhsa_user_sgpr_flat_scratch_init 0
		.amdhsa_user_sgpr_kernarg_preload_length 0
		.amdhsa_user_sgpr_kernarg_preload_offset 0
		.amdhsa_user_sgpr_private_segment_size 0
		.amdhsa_uses_dynamic_stack 0
		.amdhsa_system_sgpr_private_segment_wavefront_offset 0
		.amdhsa_system_sgpr_workgroup_id_x 1
		.amdhsa_system_sgpr_workgroup_id_y 0
		.amdhsa_system_sgpr_workgroup_id_z 0
		.amdhsa_system_sgpr_workgroup_info 0
		.amdhsa_system_vgpr_workitem_id 0
		.amdhsa_next_free_vgpr 62
		.amdhsa_next_free_sgpr 84
		.amdhsa_accum_offset 64
		.amdhsa_reserve_vcc 1
		.amdhsa_reserve_flat_scratch 0
		.amdhsa_float_round_mode_32 0
		.amdhsa_float_round_mode_16_64 0
		.amdhsa_float_denorm_mode_32 3
		.amdhsa_float_denorm_mode_16_64 3
		.amdhsa_dx10_clamp 1
		.amdhsa_ieee_mode 1
		.amdhsa_fp16_overflow 0
		.amdhsa_tg_split 0
		.amdhsa_exception_fp_ieee_invalid_op 0
		.amdhsa_exception_fp_denorm_src 0
		.amdhsa_exception_fp_ieee_div_zero 0
		.amdhsa_exception_fp_ieee_overflow 0
		.amdhsa_exception_fp_ieee_underflow 0
		.amdhsa_exception_fp_ieee_inexact 0
		.amdhsa_exception_int_div_zero 0
	.end_amdhsa_kernel
	.section	.text._ZN2at6native12_GLOBAL__N_143distribution_elementwise_grid_stride_kernelIfLi4EZNS0_9templates4cuda21uniform_and_transformIN3c108BFloat16EfPNS_17CUDAGeneratorImplEZZZNS4_13cauchy_kernelIS9_EEvRNS_18TensorIteratorBaseEddT_ENKUlvE_clEvENKUlvE2_clEvEUlfE_EEvSC_T1_T2_EUlP25hiprandStatePhilox4_32_10E0_ZNS1_27distribution_nullary_kernelIS7_f15HIP_vector_typeIfLj4EES9_SL_SG_EEvSC_SI_RKT3_T4_EUlifE0_EEvlNS_15PhiloxCudaStateESH_SI_,"axG",@progbits,_ZN2at6native12_GLOBAL__N_143distribution_elementwise_grid_stride_kernelIfLi4EZNS0_9templates4cuda21uniform_and_transformIN3c108BFloat16EfPNS_17CUDAGeneratorImplEZZZNS4_13cauchy_kernelIS9_EEvRNS_18TensorIteratorBaseEddT_ENKUlvE_clEvENKUlvE2_clEvEUlfE_EEvSC_T1_T2_EUlP25hiprandStatePhilox4_32_10E0_ZNS1_27distribution_nullary_kernelIS7_f15HIP_vector_typeIfLj4EES9_SL_SG_EEvSC_SI_RKT3_T4_EUlifE0_EEvlNS_15PhiloxCudaStateESH_SI_,comdat
.Lfunc_end15:
	.size	_ZN2at6native12_GLOBAL__N_143distribution_elementwise_grid_stride_kernelIfLi4EZNS0_9templates4cuda21uniform_and_transformIN3c108BFloat16EfPNS_17CUDAGeneratorImplEZZZNS4_13cauchy_kernelIS9_EEvRNS_18TensorIteratorBaseEddT_ENKUlvE_clEvENKUlvE2_clEvEUlfE_EEvSC_T1_T2_EUlP25hiprandStatePhilox4_32_10E0_ZNS1_27distribution_nullary_kernelIS7_f15HIP_vector_typeIfLj4EES9_SL_SG_EEvSC_SI_RKT3_T4_EUlifE0_EEvlNS_15PhiloxCudaStateESH_SI_, .Lfunc_end15-_ZN2at6native12_GLOBAL__N_143distribution_elementwise_grid_stride_kernelIfLi4EZNS0_9templates4cuda21uniform_and_transformIN3c108BFloat16EfPNS_17CUDAGeneratorImplEZZZNS4_13cauchy_kernelIS9_EEvRNS_18TensorIteratorBaseEddT_ENKUlvE_clEvENKUlvE2_clEvEUlfE_EEvSC_T1_T2_EUlP25hiprandStatePhilox4_32_10E0_ZNS1_27distribution_nullary_kernelIS7_f15HIP_vector_typeIfLj4EES9_SL_SG_EEvSC_SI_RKT3_T4_EUlifE0_EEvlNS_15PhiloxCudaStateESH_SI_
                                        ; -- End function
	.section	.AMDGPU.csdata,"",@progbits
; Kernel info:
; codeLenInByte = 7780
; NumSgprs: 88
; NumVgprs: 62
; NumAgprs: 0
; TotalNumVgprs: 62
; ScratchSize: 0
; MemoryBound: 0
; FloatMode: 240
; IeeeMode: 1
; LDSByteSize: 0 bytes/workgroup (compile time only)
; SGPRBlocks: 10
; VGPRBlocks: 7
; NumSGPRsForWavesPerEU: 88
; NumVGPRsForWavesPerEU: 62
; AccumOffset: 64
; Occupancy: 8
; WaveLimiterHint : 1
; COMPUTE_PGM_RSRC2:SCRATCH_EN: 0
; COMPUTE_PGM_RSRC2:USER_SGPR: 6
; COMPUTE_PGM_RSRC2:TRAP_HANDLER: 0
; COMPUTE_PGM_RSRC2:TGID_X_EN: 1
; COMPUTE_PGM_RSRC2:TGID_Y_EN: 0
; COMPUTE_PGM_RSRC2:TGID_Z_EN: 0
; COMPUTE_PGM_RSRC2:TIDIG_COMP_CNT: 0
; COMPUTE_PGM_RSRC3_GFX90A:ACCUM_OFFSET: 15
; COMPUTE_PGM_RSRC3_GFX90A:TG_SPLIT: 0
	.text
	.p2alignl 6, 3212836864
	.fill 256, 4, 3212836864
	.type	__hip_cuid_c5b6d1fd65da7a20,@object ; @__hip_cuid_c5b6d1fd65da7a20
	.section	.bss,"aw",@nobits
	.globl	__hip_cuid_c5b6d1fd65da7a20
__hip_cuid_c5b6d1fd65da7a20:
	.byte	0                               ; 0x0
	.size	__hip_cuid_c5b6d1fd65da7a20, 1

	.ident	"AMD clang version 19.0.0git (https://github.com/RadeonOpenCompute/llvm-project roc-6.4.0 25133 c7fe45cf4b819c5991fe208aaa96edf142730f1d)"
	.section	".note.GNU-stack","",@progbits
	.addrsig
	.addrsig_sym __hip_cuid_c5b6d1fd65da7a20
	.amdgpu_metadata
---
amdhsa.kernels:
  - .agpr_count:     0
    .args:
      - .offset:         0
        .size:           8
        .value_kind:     by_value
      - .offset:         8
        .size:           32
        .value_kind:     by_value
      - .offset:         40
        .size:           1
        .value_kind:     by_value
      - .offset:         48
        .size:           32
        .value_kind:     by_value
      - .offset:         80
        .size:           4
        .value_kind:     hidden_block_count_x
      - .offset:         84
        .size:           4
        .value_kind:     hidden_block_count_y
      - .offset:         88
        .size:           4
        .value_kind:     hidden_block_count_z
      - .offset:         92
        .size:           2
        .value_kind:     hidden_group_size_x
      - .offset:         94
        .size:           2
        .value_kind:     hidden_group_size_y
      - .offset:         96
        .size:           2
        .value_kind:     hidden_group_size_z
      - .offset:         98
        .size:           2
        .value_kind:     hidden_remainder_x
      - .offset:         100
        .size:           2
        .value_kind:     hidden_remainder_y
      - .offset:         102
        .size:           2
        .value_kind:     hidden_remainder_z
      - .offset:         120
        .size:           8
        .value_kind:     hidden_global_offset_x
      - .offset:         128
        .size:           8
        .value_kind:     hidden_global_offset_y
      - .offset:         136
        .size:           8
        .value_kind:     hidden_global_offset_z
      - .offset:         144
        .size:           2
        .value_kind:     hidden_grid_dims
    .group_segment_fixed_size: 0
    .kernarg_segment_align: 8
    .kernarg_segment_size: 336
    .language:       OpenCL C
    .language_version:
      - 2
      - 0
    .max_flat_workgroup_size: 256
    .name:           _ZN2at6native12_GLOBAL__N_143distribution_elementwise_grid_stride_kernelIdLi2EZNS0_9templates4cuda21uniform_and_transformIddPNS_17CUDAGeneratorImplEZZZNS4_13cauchy_kernelIS7_EEvRNS_18TensorIteratorBaseEddT_ENKUlvE_clEvENKUlvE_clEvEUldE_EEvSA_T1_T2_EUlP25hiprandStatePhilox4_32_10E_ZNS1_27distribution_nullary_kernelIdd15HIP_vector_typeIdLj2EES7_SJ_SE_EEvSA_SG_RKT3_T4_EUlidE_EEvlNS_15PhiloxCudaStateESF_SG_
    .private_segment_fixed_size: 0
    .sgpr_count:     56
    .sgpr_spill_count: 0
    .symbol:         _ZN2at6native12_GLOBAL__N_143distribution_elementwise_grid_stride_kernelIdLi2EZNS0_9templates4cuda21uniform_and_transformIddPNS_17CUDAGeneratorImplEZZZNS4_13cauchy_kernelIS7_EEvRNS_18TensorIteratorBaseEddT_ENKUlvE_clEvENKUlvE_clEvEUldE_EEvSA_T1_T2_EUlP25hiprandStatePhilox4_32_10E_ZNS1_27distribution_nullary_kernelIdd15HIP_vector_typeIdLj2EES7_SJ_SE_EEvSA_SG_RKT3_T4_EUlidE_EEvlNS_15PhiloxCudaStateESF_SG_.kd
    .uniform_work_group_size: 1
    .uses_dynamic_stack: false
    .vgpr_count:     92
    .vgpr_spill_count: 0
    .wavefront_size: 64
  - .agpr_count:     0
    .args:
      - .offset:         0
        .size:           8
        .value_kind:     by_value
      - .offset:         8
        .size:           32
        .value_kind:     by_value
      - .offset:         40
        .size:           1
        .value_kind:     by_value
      - .offset:         48
        .size:           288
        .value_kind:     by_value
      - .offset:         336
        .size:           4
        .value_kind:     hidden_block_count_x
      - .offset:         340
        .size:           4
        .value_kind:     hidden_block_count_y
      - .offset:         344
        .size:           4
        .value_kind:     hidden_block_count_z
      - .offset:         348
        .size:           2
        .value_kind:     hidden_group_size_x
      - .offset:         350
        .size:           2
        .value_kind:     hidden_group_size_y
      - .offset:         352
        .size:           2
        .value_kind:     hidden_group_size_z
      - .offset:         354
        .size:           2
        .value_kind:     hidden_remainder_x
      - .offset:         356
        .size:           2
        .value_kind:     hidden_remainder_y
      - .offset:         358
        .size:           2
        .value_kind:     hidden_remainder_z
      - .offset:         376
        .size:           8
        .value_kind:     hidden_global_offset_x
      - .offset:         384
        .size:           8
        .value_kind:     hidden_global_offset_y
      - .offset:         392
        .size:           8
        .value_kind:     hidden_global_offset_z
      - .offset:         400
        .size:           2
        .value_kind:     hidden_grid_dims
    .group_segment_fixed_size: 0
    .kernarg_segment_align: 8
    .kernarg_segment_size: 592
    .language:       OpenCL C
    .language_version:
      - 2
      - 0
    .max_flat_workgroup_size: 256
    .name:           _ZN2at6native12_GLOBAL__N_143distribution_elementwise_grid_stride_kernelIdLi2EZNS0_9templates4cuda21uniform_and_transformIddPNS_17CUDAGeneratorImplEZZZNS4_13cauchy_kernelIS7_EEvRNS_18TensorIteratorBaseEddT_ENKUlvE_clEvENKUlvE_clEvEUldE_EEvSA_T1_T2_EUlP25hiprandStatePhilox4_32_10E_ZNS1_27distribution_nullary_kernelIdd15HIP_vector_typeIdLj2EES7_SJ_SE_EEvSA_SG_RKT3_T4_EUlidE0_EEvlNS_15PhiloxCudaStateESF_SG_
    .private_segment_fixed_size: 0
    .sgpr_count:     96
    .sgpr_spill_count: 0
    .symbol:         _ZN2at6native12_GLOBAL__N_143distribution_elementwise_grid_stride_kernelIdLi2EZNS0_9templates4cuda21uniform_and_transformIddPNS_17CUDAGeneratorImplEZZZNS4_13cauchy_kernelIS7_EEvRNS_18TensorIteratorBaseEddT_ENKUlvE_clEvENKUlvE_clEvEUldE_EEvSA_T1_T2_EUlP25hiprandStatePhilox4_32_10E_ZNS1_27distribution_nullary_kernelIdd15HIP_vector_typeIdLj2EES7_SJ_SE_EEvSA_SG_RKT3_T4_EUlidE0_EEvlNS_15PhiloxCudaStateESF_SG_.kd
    .uniform_work_group_size: 1
    .uses_dynamic_stack: false
    .vgpr_count:     92
    .vgpr_spill_count: 0
    .wavefront_size: 64
  - .agpr_count:     0
    .args:
      - .offset:         0
        .size:           8
        .value_kind:     by_value
      - .offset:         8
        .size:           32
        .value_kind:     by_value
      - .offset:         40
        .size:           1
        .value_kind:     by_value
      - .offset:         48
        .size:           32
        .value_kind:     by_value
      - .offset:         80
        .size:           4
        .value_kind:     hidden_block_count_x
      - .offset:         84
        .size:           4
        .value_kind:     hidden_block_count_y
      - .offset:         88
        .size:           4
        .value_kind:     hidden_block_count_z
      - .offset:         92
        .size:           2
        .value_kind:     hidden_group_size_x
      - .offset:         94
        .size:           2
        .value_kind:     hidden_group_size_y
      - .offset:         96
        .size:           2
        .value_kind:     hidden_group_size_z
      - .offset:         98
        .size:           2
        .value_kind:     hidden_remainder_x
      - .offset:         100
        .size:           2
        .value_kind:     hidden_remainder_y
      - .offset:         102
        .size:           2
        .value_kind:     hidden_remainder_z
      - .offset:         120
        .size:           8
        .value_kind:     hidden_global_offset_x
      - .offset:         128
        .size:           8
        .value_kind:     hidden_global_offset_y
      - .offset:         136
        .size:           8
        .value_kind:     hidden_global_offset_z
      - .offset:         144
        .size:           2
        .value_kind:     hidden_grid_dims
    .group_segment_fixed_size: 0
    .kernarg_segment_align: 8
    .kernarg_segment_size: 336
    .language:       OpenCL C
    .language_version:
      - 2
      - 0
    .max_flat_workgroup_size: 256
    .name:           _ZN2at6native12_GLOBAL__N_143distribution_elementwise_grid_stride_kernelIdLi2EZNS0_9templates4cuda21uniform_and_transformIddPNS_17CUDAGeneratorImplEZZZNS4_13cauchy_kernelIS7_EEvRNS_18TensorIteratorBaseEddT_ENKUlvE_clEvENKUlvE_clEvEUldE_EEvSA_T1_T2_EUlP25hiprandStatePhilox4_32_10E0_ZNS1_27distribution_nullary_kernelIdd15HIP_vector_typeIfLj4EES7_SJ_SE_EEvSA_SG_RKT3_T4_EUlidE_EEvlNS_15PhiloxCudaStateESF_SG_
    .private_segment_fixed_size: 0
    .sgpr_count:     56
    .sgpr_spill_count: 0
    .symbol:         _ZN2at6native12_GLOBAL__N_143distribution_elementwise_grid_stride_kernelIdLi2EZNS0_9templates4cuda21uniform_and_transformIddPNS_17CUDAGeneratorImplEZZZNS4_13cauchy_kernelIS7_EEvRNS_18TensorIteratorBaseEddT_ENKUlvE_clEvENKUlvE_clEvEUldE_EEvSA_T1_T2_EUlP25hiprandStatePhilox4_32_10E0_ZNS1_27distribution_nullary_kernelIdd15HIP_vector_typeIfLj4EES7_SJ_SE_EEvSA_SG_RKT3_T4_EUlidE_EEvlNS_15PhiloxCudaStateESF_SG_.kd
    .uniform_work_group_size: 1
    .uses_dynamic_stack: false
    .vgpr_count:     92
    .vgpr_spill_count: 0
    .wavefront_size: 64
  - .agpr_count:     0
    .args:
      - .offset:         0
        .size:           8
        .value_kind:     by_value
      - .offset:         8
        .size:           32
        .value_kind:     by_value
      - .offset:         40
        .size:           1
        .value_kind:     by_value
      - .offset:         48
        .size:           288
        .value_kind:     by_value
      - .offset:         336
        .size:           4
        .value_kind:     hidden_block_count_x
      - .offset:         340
        .size:           4
        .value_kind:     hidden_block_count_y
      - .offset:         344
        .size:           4
        .value_kind:     hidden_block_count_z
      - .offset:         348
        .size:           2
        .value_kind:     hidden_group_size_x
      - .offset:         350
        .size:           2
        .value_kind:     hidden_group_size_y
      - .offset:         352
        .size:           2
        .value_kind:     hidden_group_size_z
      - .offset:         354
        .size:           2
        .value_kind:     hidden_remainder_x
      - .offset:         356
        .size:           2
        .value_kind:     hidden_remainder_y
      - .offset:         358
        .size:           2
        .value_kind:     hidden_remainder_z
      - .offset:         376
        .size:           8
        .value_kind:     hidden_global_offset_x
      - .offset:         384
        .size:           8
        .value_kind:     hidden_global_offset_y
      - .offset:         392
        .size:           8
        .value_kind:     hidden_global_offset_z
      - .offset:         400
        .size:           2
        .value_kind:     hidden_grid_dims
    .group_segment_fixed_size: 0
    .kernarg_segment_align: 8
    .kernarg_segment_size: 592
    .language:       OpenCL C
    .language_version:
      - 2
      - 0
    .max_flat_workgroup_size: 256
    .name:           _ZN2at6native12_GLOBAL__N_143distribution_elementwise_grid_stride_kernelIdLi2EZNS0_9templates4cuda21uniform_and_transformIddPNS_17CUDAGeneratorImplEZZZNS4_13cauchy_kernelIS7_EEvRNS_18TensorIteratorBaseEddT_ENKUlvE_clEvENKUlvE_clEvEUldE_EEvSA_T1_T2_EUlP25hiprandStatePhilox4_32_10E0_ZNS1_27distribution_nullary_kernelIdd15HIP_vector_typeIfLj4EES7_SJ_SE_EEvSA_SG_RKT3_T4_EUlidE0_EEvlNS_15PhiloxCudaStateESF_SG_
    .private_segment_fixed_size: 0
    .sgpr_count:     96
    .sgpr_spill_count: 0
    .symbol:         _ZN2at6native12_GLOBAL__N_143distribution_elementwise_grid_stride_kernelIdLi2EZNS0_9templates4cuda21uniform_and_transformIddPNS_17CUDAGeneratorImplEZZZNS4_13cauchy_kernelIS7_EEvRNS_18TensorIteratorBaseEddT_ENKUlvE_clEvENKUlvE_clEvEUldE_EEvSA_T1_T2_EUlP25hiprandStatePhilox4_32_10E0_ZNS1_27distribution_nullary_kernelIdd15HIP_vector_typeIfLj4EES7_SJ_SE_EEvSA_SG_RKT3_T4_EUlidE0_EEvlNS_15PhiloxCudaStateESF_SG_.kd
    .uniform_work_group_size: 1
    .uses_dynamic_stack: false
    .vgpr_count:     92
    .vgpr_spill_count: 0
    .wavefront_size: 64
  - .agpr_count:     0
    .args:
      - .offset:         0
        .size:           8
        .value_kind:     by_value
      - .offset:         8
        .size:           32
        .value_kind:     by_value
      - .offset:         40
        .size:           1
        .value_kind:     by_value
      - .offset:         48
        .size:           24
        .value_kind:     by_value
      - .offset:         72
        .size:           4
        .value_kind:     hidden_block_count_x
      - .offset:         76
        .size:           4
        .value_kind:     hidden_block_count_y
      - .offset:         80
        .size:           4
        .value_kind:     hidden_block_count_z
      - .offset:         84
        .size:           2
        .value_kind:     hidden_group_size_x
      - .offset:         86
        .size:           2
        .value_kind:     hidden_group_size_y
      - .offset:         88
        .size:           2
        .value_kind:     hidden_group_size_z
      - .offset:         90
        .size:           2
        .value_kind:     hidden_remainder_x
      - .offset:         92
        .size:           2
        .value_kind:     hidden_remainder_y
      - .offset:         94
        .size:           2
        .value_kind:     hidden_remainder_z
      - .offset:         112
        .size:           8
        .value_kind:     hidden_global_offset_x
      - .offset:         120
        .size:           8
        .value_kind:     hidden_global_offset_y
      - .offset:         128
        .size:           8
        .value_kind:     hidden_global_offset_z
      - .offset:         136
        .size:           2
        .value_kind:     hidden_grid_dims
    .group_segment_fixed_size: 0
    .kernarg_segment_align: 8
    .kernarg_segment_size: 328
    .language:       OpenCL C
    .language_version:
      - 2
      - 0
    .max_flat_workgroup_size: 256
    .name:           _ZN2at6native12_GLOBAL__N_143distribution_elementwise_grid_stride_kernelIfLi4EZNS0_9templates4cuda21uniform_and_transformIffPNS_17CUDAGeneratorImplEZZZNS4_13cauchy_kernelIS7_EEvRNS_18TensorIteratorBaseEddT_ENKUlvE_clEvENKUlvE0_clEvEUlfE_EEvSA_T1_T2_EUlP25hiprandStatePhilox4_32_10E_ZNS1_27distribution_nullary_kernelIff15HIP_vector_typeIdLj2EES7_SJ_SE_EEvSA_SG_RKT3_T4_EUlifE_EEvlNS_15PhiloxCudaStateESF_SG_
    .private_segment_fixed_size: 0
    .sgpr_count:     46
    .sgpr_spill_count: 0
    .symbol:         _ZN2at6native12_GLOBAL__N_143distribution_elementwise_grid_stride_kernelIfLi4EZNS0_9templates4cuda21uniform_and_transformIffPNS_17CUDAGeneratorImplEZZZNS4_13cauchy_kernelIS7_EEvRNS_18TensorIteratorBaseEddT_ENKUlvE_clEvENKUlvE0_clEvEUlfE_EEvSA_T1_T2_EUlP25hiprandStatePhilox4_32_10E_ZNS1_27distribution_nullary_kernelIff15HIP_vector_typeIdLj2EES7_SJ_SE_EEvSA_SG_RKT3_T4_EUlifE_EEvlNS_15PhiloxCudaStateESF_SG_.kd
    .uniform_work_group_size: 1
    .uses_dynamic_stack: false
    .vgpr_count:     62
    .vgpr_spill_count: 0
    .wavefront_size: 64
  - .agpr_count:     0
    .args:
      - .offset:         0
        .size:           8
        .value_kind:     by_value
      - .offset:         8
        .size:           32
        .value_kind:     by_value
      - .offset:         40
        .size:           1
        .value_kind:     by_value
      - .offset:         48
        .size:           280
        .value_kind:     by_value
      - .offset:         328
        .size:           4
        .value_kind:     hidden_block_count_x
      - .offset:         332
        .size:           4
        .value_kind:     hidden_block_count_y
      - .offset:         336
        .size:           4
        .value_kind:     hidden_block_count_z
      - .offset:         340
        .size:           2
        .value_kind:     hidden_group_size_x
      - .offset:         342
        .size:           2
        .value_kind:     hidden_group_size_y
      - .offset:         344
        .size:           2
        .value_kind:     hidden_group_size_z
      - .offset:         346
        .size:           2
        .value_kind:     hidden_remainder_x
      - .offset:         348
        .size:           2
        .value_kind:     hidden_remainder_y
      - .offset:         350
        .size:           2
        .value_kind:     hidden_remainder_z
      - .offset:         368
        .size:           8
        .value_kind:     hidden_global_offset_x
      - .offset:         376
        .size:           8
        .value_kind:     hidden_global_offset_y
      - .offset:         384
        .size:           8
        .value_kind:     hidden_global_offset_z
      - .offset:         392
        .size:           2
        .value_kind:     hidden_grid_dims
    .group_segment_fixed_size: 0
    .kernarg_segment_align: 8
    .kernarg_segment_size: 584
    .language:       OpenCL C
    .language_version:
      - 2
      - 0
    .max_flat_workgroup_size: 256
    .name:           _ZN2at6native12_GLOBAL__N_143distribution_elementwise_grid_stride_kernelIfLi4EZNS0_9templates4cuda21uniform_and_transformIffPNS_17CUDAGeneratorImplEZZZNS4_13cauchy_kernelIS7_EEvRNS_18TensorIteratorBaseEddT_ENKUlvE_clEvENKUlvE0_clEvEUlfE_EEvSA_T1_T2_EUlP25hiprandStatePhilox4_32_10E_ZNS1_27distribution_nullary_kernelIff15HIP_vector_typeIdLj2EES7_SJ_SE_EEvSA_SG_RKT3_T4_EUlifE0_EEvlNS_15PhiloxCudaStateESF_SG_
    .private_segment_fixed_size: 0
    .sgpr_count:     81
    .sgpr_spill_count: 0
    .symbol:         _ZN2at6native12_GLOBAL__N_143distribution_elementwise_grid_stride_kernelIfLi4EZNS0_9templates4cuda21uniform_and_transformIffPNS_17CUDAGeneratorImplEZZZNS4_13cauchy_kernelIS7_EEvRNS_18TensorIteratorBaseEddT_ENKUlvE_clEvENKUlvE0_clEvEUlfE_EEvSA_T1_T2_EUlP25hiprandStatePhilox4_32_10E_ZNS1_27distribution_nullary_kernelIff15HIP_vector_typeIdLj2EES7_SJ_SE_EEvSA_SG_RKT3_T4_EUlifE0_EEvlNS_15PhiloxCudaStateESF_SG_.kd
    .uniform_work_group_size: 1
    .uses_dynamic_stack: false
    .vgpr_count:     62
    .vgpr_spill_count: 0
    .wavefront_size: 64
  - .agpr_count:     0
    .args:
      - .offset:         0
        .size:           8
        .value_kind:     by_value
      - .offset:         8
        .size:           32
        .value_kind:     by_value
      - .offset:         40
        .size:           1
        .value_kind:     by_value
      - .offset:         48
        .size:           24
        .value_kind:     by_value
      - .offset:         72
        .size:           4
        .value_kind:     hidden_block_count_x
      - .offset:         76
        .size:           4
        .value_kind:     hidden_block_count_y
      - .offset:         80
        .size:           4
        .value_kind:     hidden_block_count_z
      - .offset:         84
        .size:           2
        .value_kind:     hidden_group_size_x
      - .offset:         86
        .size:           2
        .value_kind:     hidden_group_size_y
      - .offset:         88
        .size:           2
        .value_kind:     hidden_group_size_z
      - .offset:         90
        .size:           2
        .value_kind:     hidden_remainder_x
      - .offset:         92
        .size:           2
        .value_kind:     hidden_remainder_y
      - .offset:         94
        .size:           2
        .value_kind:     hidden_remainder_z
      - .offset:         112
        .size:           8
        .value_kind:     hidden_global_offset_x
      - .offset:         120
        .size:           8
        .value_kind:     hidden_global_offset_y
      - .offset:         128
        .size:           8
        .value_kind:     hidden_global_offset_z
      - .offset:         136
        .size:           2
        .value_kind:     hidden_grid_dims
    .group_segment_fixed_size: 0
    .kernarg_segment_align: 8
    .kernarg_segment_size: 328
    .language:       OpenCL C
    .language_version:
      - 2
      - 0
    .max_flat_workgroup_size: 256
    .name:           _ZN2at6native12_GLOBAL__N_143distribution_elementwise_grid_stride_kernelIfLi4EZNS0_9templates4cuda21uniform_and_transformIffPNS_17CUDAGeneratorImplEZZZNS4_13cauchy_kernelIS7_EEvRNS_18TensorIteratorBaseEddT_ENKUlvE_clEvENKUlvE0_clEvEUlfE_EEvSA_T1_T2_EUlP25hiprandStatePhilox4_32_10E0_ZNS1_27distribution_nullary_kernelIff15HIP_vector_typeIfLj4EES7_SJ_SE_EEvSA_SG_RKT3_T4_EUlifE_EEvlNS_15PhiloxCudaStateESF_SG_
    .private_segment_fixed_size: 0
    .sgpr_count:     50
    .sgpr_spill_count: 0
    .symbol:         _ZN2at6native12_GLOBAL__N_143distribution_elementwise_grid_stride_kernelIfLi4EZNS0_9templates4cuda21uniform_and_transformIffPNS_17CUDAGeneratorImplEZZZNS4_13cauchy_kernelIS7_EEvRNS_18TensorIteratorBaseEddT_ENKUlvE_clEvENKUlvE0_clEvEUlfE_EEvSA_T1_T2_EUlP25hiprandStatePhilox4_32_10E0_ZNS1_27distribution_nullary_kernelIff15HIP_vector_typeIfLj4EES7_SJ_SE_EEvSA_SG_RKT3_T4_EUlifE_EEvlNS_15PhiloxCudaStateESF_SG_.kd
    .uniform_work_group_size: 1
    .uses_dynamic_stack: false
    .vgpr_count:     64
    .vgpr_spill_count: 0
    .wavefront_size: 64
  - .agpr_count:     0
    .args:
      - .offset:         0
        .size:           8
        .value_kind:     by_value
      - .offset:         8
        .size:           32
        .value_kind:     by_value
      - .offset:         40
        .size:           1
        .value_kind:     by_value
      - .offset:         48
        .size:           280
        .value_kind:     by_value
      - .offset:         328
        .size:           4
        .value_kind:     hidden_block_count_x
      - .offset:         332
        .size:           4
        .value_kind:     hidden_block_count_y
      - .offset:         336
        .size:           4
        .value_kind:     hidden_block_count_z
      - .offset:         340
        .size:           2
        .value_kind:     hidden_group_size_x
      - .offset:         342
        .size:           2
        .value_kind:     hidden_group_size_y
      - .offset:         344
        .size:           2
        .value_kind:     hidden_group_size_z
      - .offset:         346
        .size:           2
        .value_kind:     hidden_remainder_x
      - .offset:         348
        .size:           2
        .value_kind:     hidden_remainder_y
      - .offset:         350
        .size:           2
        .value_kind:     hidden_remainder_z
      - .offset:         368
        .size:           8
        .value_kind:     hidden_global_offset_x
      - .offset:         376
        .size:           8
        .value_kind:     hidden_global_offset_y
      - .offset:         384
        .size:           8
        .value_kind:     hidden_global_offset_z
      - .offset:         392
        .size:           2
        .value_kind:     hidden_grid_dims
    .group_segment_fixed_size: 0
    .kernarg_segment_align: 8
    .kernarg_segment_size: 584
    .language:       OpenCL C
    .language_version:
      - 2
      - 0
    .max_flat_workgroup_size: 256
    .name:           _ZN2at6native12_GLOBAL__N_143distribution_elementwise_grid_stride_kernelIfLi4EZNS0_9templates4cuda21uniform_and_transformIffPNS_17CUDAGeneratorImplEZZZNS4_13cauchy_kernelIS7_EEvRNS_18TensorIteratorBaseEddT_ENKUlvE_clEvENKUlvE0_clEvEUlfE_EEvSA_T1_T2_EUlP25hiprandStatePhilox4_32_10E0_ZNS1_27distribution_nullary_kernelIff15HIP_vector_typeIfLj4EES7_SJ_SE_EEvSA_SG_RKT3_T4_EUlifE0_EEvlNS_15PhiloxCudaStateESF_SG_
    .private_segment_fixed_size: 0
    .sgpr_count:     87
    .sgpr_spill_count: 0
    .symbol:         _ZN2at6native12_GLOBAL__N_143distribution_elementwise_grid_stride_kernelIfLi4EZNS0_9templates4cuda21uniform_and_transformIffPNS_17CUDAGeneratorImplEZZZNS4_13cauchy_kernelIS7_EEvRNS_18TensorIteratorBaseEddT_ENKUlvE_clEvENKUlvE0_clEvEUlfE_EEvSA_T1_T2_EUlP25hiprandStatePhilox4_32_10E0_ZNS1_27distribution_nullary_kernelIff15HIP_vector_typeIfLj4EES7_SJ_SE_EEvSA_SG_RKT3_T4_EUlifE0_EEvlNS_15PhiloxCudaStateESF_SG_.kd
    .uniform_work_group_size: 1
    .uses_dynamic_stack: false
    .vgpr_count:     62
    .vgpr_spill_count: 0
    .wavefront_size: 64
  - .agpr_count:     0
    .args:
      - .offset:         0
        .size:           8
        .value_kind:     by_value
      - .offset:         8
        .size:           32
        .value_kind:     by_value
      - .offset:         40
        .size:           1
        .value_kind:     by_value
      - .offset:         48
        .size:           24
        .value_kind:     by_value
      - .offset:         72
        .size:           4
        .value_kind:     hidden_block_count_x
      - .offset:         76
        .size:           4
        .value_kind:     hidden_block_count_y
      - .offset:         80
        .size:           4
        .value_kind:     hidden_block_count_z
      - .offset:         84
        .size:           2
        .value_kind:     hidden_group_size_x
      - .offset:         86
        .size:           2
        .value_kind:     hidden_group_size_y
      - .offset:         88
        .size:           2
        .value_kind:     hidden_group_size_z
      - .offset:         90
        .size:           2
        .value_kind:     hidden_remainder_x
      - .offset:         92
        .size:           2
        .value_kind:     hidden_remainder_y
      - .offset:         94
        .size:           2
        .value_kind:     hidden_remainder_z
      - .offset:         112
        .size:           8
        .value_kind:     hidden_global_offset_x
      - .offset:         120
        .size:           8
        .value_kind:     hidden_global_offset_y
      - .offset:         128
        .size:           8
        .value_kind:     hidden_global_offset_z
      - .offset:         136
        .size:           2
        .value_kind:     hidden_grid_dims
    .group_segment_fixed_size: 0
    .kernarg_segment_align: 8
    .kernarg_segment_size: 328
    .language:       OpenCL C
    .language_version:
      - 2
      - 0
    .max_flat_workgroup_size: 256
    .name:           _ZN2at6native12_GLOBAL__N_143distribution_elementwise_grid_stride_kernelIfLi4EZNS0_9templates4cuda21uniform_and_transformIN3c104HalfEfPNS_17CUDAGeneratorImplEZZZNS4_13cauchy_kernelIS9_EEvRNS_18TensorIteratorBaseEddT_ENKUlvE_clEvENKUlvE1_clEvEUlfE_EEvSC_T1_T2_EUlP25hiprandStatePhilox4_32_10E_ZNS1_27distribution_nullary_kernelIS7_f15HIP_vector_typeIdLj2EES9_SL_SG_EEvSC_SI_RKT3_T4_EUlifE_EEvlNS_15PhiloxCudaStateESH_SI_
    .private_segment_fixed_size: 0
    .sgpr_count:     46
    .sgpr_spill_count: 0
    .symbol:         _ZN2at6native12_GLOBAL__N_143distribution_elementwise_grid_stride_kernelIfLi4EZNS0_9templates4cuda21uniform_and_transformIN3c104HalfEfPNS_17CUDAGeneratorImplEZZZNS4_13cauchy_kernelIS9_EEvRNS_18TensorIteratorBaseEddT_ENKUlvE_clEvENKUlvE1_clEvEUlfE_EEvSC_T1_T2_EUlP25hiprandStatePhilox4_32_10E_ZNS1_27distribution_nullary_kernelIS7_f15HIP_vector_typeIdLj2EES9_SL_SG_EEvSC_SI_RKT3_T4_EUlifE_EEvlNS_15PhiloxCudaStateESH_SI_.kd
    .uniform_work_group_size: 1
    .uses_dynamic_stack: false
    .vgpr_count:     62
    .vgpr_spill_count: 0
    .wavefront_size: 64
  - .agpr_count:     0
    .args:
      - .offset:         0
        .size:           8
        .value_kind:     by_value
      - .offset:         8
        .size:           32
        .value_kind:     by_value
      - .offset:         40
        .size:           1
        .value_kind:     by_value
      - .offset:         48
        .size:           280
        .value_kind:     by_value
      - .offset:         328
        .size:           4
        .value_kind:     hidden_block_count_x
      - .offset:         332
        .size:           4
        .value_kind:     hidden_block_count_y
      - .offset:         336
        .size:           4
        .value_kind:     hidden_block_count_z
      - .offset:         340
        .size:           2
        .value_kind:     hidden_group_size_x
      - .offset:         342
        .size:           2
        .value_kind:     hidden_group_size_y
      - .offset:         344
        .size:           2
        .value_kind:     hidden_group_size_z
      - .offset:         346
        .size:           2
        .value_kind:     hidden_remainder_x
      - .offset:         348
        .size:           2
        .value_kind:     hidden_remainder_y
      - .offset:         350
        .size:           2
        .value_kind:     hidden_remainder_z
      - .offset:         368
        .size:           8
        .value_kind:     hidden_global_offset_x
      - .offset:         376
        .size:           8
        .value_kind:     hidden_global_offset_y
      - .offset:         384
        .size:           8
        .value_kind:     hidden_global_offset_z
      - .offset:         392
        .size:           2
        .value_kind:     hidden_grid_dims
    .group_segment_fixed_size: 0
    .kernarg_segment_align: 8
    .kernarg_segment_size: 584
    .language:       OpenCL C
    .language_version:
      - 2
      - 0
    .max_flat_workgroup_size: 256
    .name:           _ZN2at6native12_GLOBAL__N_143distribution_elementwise_grid_stride_kernelIfLi4EZNS0_9templates4cuda21uniform_and_transformIN3c104HalfEfPNS_17CUDAGeneratorImplEZZZNS4_13cauchy_kernelIS9_EEvRNS_18TensorIteratorBaseEddT_ENKUlvE_clEvENKUlvE1_clEvEUlfE_EEvSC_T1_T2_EUlP25hiprandStatePhilox4_32_10E_ZNS1_27distribution_nullary_kernelIS7_f15HIP_vector_typeIdLj2EES9_SL_SG_EEvSC_SI_RKT3_T4_EUlifE0_EEvlNS_15PhiloxCudaStateESH_SI_
    .private_segment_fixed_size: 0
    .sgpr_count:     81
    .sgpr_spill_count: 0
    .symbol:         _ZN2at6native12_GLOBAL__N_143distribution_elementwise_grid_stride_kernelIfLi4EZNS0_9templates4cuda21uniform_and_transformIN3c104HalfEfPNS_17CUDAGeneratorImplEZZZNS4_13cauchy_kernelIS9_EEvRNS_18TensorIteratorBaseEddT_ENKUlvE_clEvENKUlvE1_clEvEUlfE_EEvSC_T1_T2_EUlP25hiprandStatePhilox4_32_10E_ZNS1_27distribution_nullary_kernelIS7_f15HIP_vector_typeIdLj2EES9_SL_SG_EEvSC_SI_RKT3_T4_EUlifE0_EEvlNS_15PhiloxCudaStateESH_SI_.kd
    .uniform_work_group_size: 1
    .uses_dynamic_stack: false
    .vgpr_count:     62
    .vgpr_spill_count: 0
    .wavefront_size: 64
  - .agpr_count:     0
    .args:
      - .offset:         0
        .size:           8
        .value_kind:     by_value
      - .offset:         8
        .size:           32
        .value_kind:     by_value
      - .offset:         40
        .size:           1
        .value_kind:     by_value
      - .offset:         48
        .size:           24
        .value_kind:     by_value
      - .offset:         72
        .size:           4
        .value_kind:     hidden_block_count_x
      - .offset:         76
        .size:           4
        .value_kind:     hidden_block_count_y
      - .offset:         80
        .size:           4
        .value_kind:     hidden_block_count_z
      - .offset:         84
        .size:           2
        .value_kind:     hidden_group_size_x
      - .offset:         86
        .size:           2
        .value_kind:     hidden_group_size_y
      - .offset:         88
        .size:           2
        .value_kind:     hidden_group_size_z
      - .offset:         90
        .size:           2
        .value_kind:     hidden_remainder_x
      - .offset:         92
        .size:           2
        .value_kind:     hidden_remainder_y
      - .offset:         94
        .size:           2
        .value_kind:     hidden_remainder_z
      - .offset:         112
        .size:           8
        .value_kind:     hidden_global_offset_x
      - .offset:         120
        .size:           8
        .value_kind:     hidden_global_offset_y
      - .offset:         128
        .size:           8
        .value_kind:     hidden_global_offset_z
      - .offset:         136
        .size:           2
        .value_kind:     hidden_grid_dims
    .group_segment_fixed_size: 0
    .kernarg_segment_align: 8
    .kernarg_segment_size: 328
    .language:       OpenCL C
    .language_version:
      - 2
      - 0
    .max_flat_workgroup_size: 256
    .name:           _ZN2at6native12_GLOBAL__N_143distribution_elementwise_grid_stride_kernelIfLi4EZNS0_9templates4cuda21uniform_and_transformIN3c104HalfEfPNS_17CUDAGeneratorImplEZZZNS4_13cauchy_kernelIS9_EEvRNS_18TensorIteratorBaseEddT_ENKUlvE_clEvENKUlvE1_clEvEUlfE_EEvSC_T1_T2_EUlP25hiprandStatePhilox4_32_10E0_ZNS1_27distribution_nullary_kernelIS7_f15HIP_vector_typeIfLj4EES9_SL_SG_EEvSC_SI_RKT3_T4_EUlifE_EEvlNS_15PhiloxCudaStateESH_SI_
    .private_segment_fixed_size: 0
    .sgpr_count:     50
    .sgpr_spill_count: 0
    .symbol:         _ZN2at6native12_GLOBAL__N_143distribution_elementwise_grid_stride_kernelIfLi4EZNS0_9templates4cuda21uniform_and_transformIN3c104HalfEfPNS_17CUDAGeneratorImplEZZZNS4_13cauchy_kernelIS9_EEvRNS_18TensorIteratorBaseEddT_ENKUlvE_clEvENKUlvE1_clEvEUlfE_EEvSC_T1_T2_EUlP25hiprandStatePhilox4_32_10E0_ZNS1_27distribution_nullary_kernelIS7_f15HIP_vector_typeIfLj4EES9_SL_SG_EEvSC_SI_RKT3_T4_EUlifE_EEvlNS_15PhiloxCudaStateESH_SI_.kd
    .uniform_work_group_size: 1
    .uses_dynamic_stack: false
    .vgpr_count:     64
    .vgpr_spill_count: 0
    .wavefront_size: 64
  - .agpr_count:     0
    .args:
      - .offset:         0
        .size:           8
        .value_kind:     by_value
      - .offset:         8
        .size:           32
        .value_kind:     by_value
      - .offset:         40
        .size:           1
        .value_kind:     by_value
      - .offset:         48
        .size:           280
        .value_kind:     by_value
      - .offset:         328
        .size:           4
        .value_kind:     hidden_block_count_x
      - .offset:         332
        .size:           4
        .value_kind:     hidden_block_count_y
      - .offset:         336
        .size:           4
        .value_kind:     hidden_block_count_z
      - .offset:         340
        .size:           2
        .value_kind:     hidden_group_size_x
      - .offset:         342
        .size:           2
        .value_kind:     hidden_group_size_y
      - .offset:         344
        .size:           2
        .value_kind:     hidden_group_size_z
      - .offset:         346
        .size:           2
        .value_kind:     hidden_remainder_x
      - .offset:         348
        .size:           2
        .value_kind:     hidden_remainder_y
      - .offset:         350
        .size:           2
        .value_kind:     hidden_remainder_z
      - .offset:         368
        .size:           8
        .value_kind:     hidden_global_offset_x
      - .offset:         376
        .size:           8
        .value_kind:     hidden_global_offset_y
      - .offset:         384
        .size:           8
        .value_kind:     hidden_global_offset_z
      - .offset:         392
        .size:           2
        .value_kind:     hidden_grid_dims
    .group_segment_fixed_size: 0
    .kernarg_segment_align: 8
    .kernarg_segment_size: 584
    .language:       OpenCL C
    .language_version:
      - 2
      - 0
    .max_flat_workgroup_size: 256
    .name:           _ZN2at6native12_GLOBAL__N_143distribution_elementwise_grid_stride_kernelIfLi4EZNS0_9templates4cuda21uniform_and_transformIN3c104HalfEfPNS_17CUDAGeneratorImplEZZZNS4_13cauchy_kernelIS9_EEvRNS_18TensorIteratorBaseEddT_ENKUlvE_clEvENKUlvE1_clEvEUlfE_EEvSC_T1_T2_EUlP25hiprandStatePhilox4_32_10E0_ZNS1_27distribution_nullary_kernelIS7_f15HIP_vector_typeIfLj4EES9_SL_SG_EEvSC_SI_RKT3_T4_EUlifE0_EEvlNS_15PhiloxCudaStateESH_SI_
    .private_segment_fixed_size: 0
    .sgpr_count:     87
    .sgpr_spill_count: 0
    .symbol:         _ZN2at6native12_GLOBAL__N_143distribution_elementwise_grid_stride_kernelIfLi4EZNS0_9templates4cuda21uniform_and_transformIN3c104HalfEfPNS_17CUDAGeneratorImplEZZZNS4_13cauchy_kernelIS9_EEvRNS_18TensorIteratorBaseEddT_ENKUlvE_clEvENKUlvE1_clEvEUlfE_EEvSC_T1_T2_EUlP25hiprandStatePhilox4_32_10E0_ZNS1_27distribution_nullary_kernelIS7_f15HIP_vector_typeIfLj4EES9_SL_SG_EEvSC_SI_RKT3_T4_EUlifE0_EEvlNS_15PhiloxCudaStateESH_SI_.kd
    .uniform_work_group_size: 1
    .uses_dynamic_stack: false
    .vgpr_count:     62
    .vgpr_spill_count: 0
    .wavefront_size: 64
  - .agpr_count:     0
    .args:
      - .offset:         0
        .size:           8
        .value_kind:     by_value
      - .offset:         8
        .size:           32
        .value_kind:     by_value
      - .offset:         40
        .size:           1
        .value_kind:     by_value
      - .offset:         48
        .size:           24
        .value_kind:     by_value
      - .offset:         72
        .size:           4
        .value_kind:     hidden_block_count_x
      - .offset:         76
        .size:           4
        .value_kind:     hidden_block_count_y
      - .offset:         80
        .size:           4
        .value_kind:     hidden_block_count_z
      - .offset:         84
        .size:           2
        .value_kind:     hidden_group_size_x
      - .offset:         86
        .size:           2
        .value_kind:     hidden_group_size_y
      - .offset:         88
        .size:           2
        .value_kind:     hidden_group_size_z
      - .offset:         90
        .size:           2
        .value_kind:     hidden_remainder_x
      - .offset:         92
        .size:           2
        .value_kind:     hidden_remainder_y
      - .offset:         94
        .size:           2
        .value_kind:     hidden_remainder_z
      - .offset:         112
        .size:           8
        .value_kind:     hidden_global_offset_x
      - .offset:         120
        .size:           8
        .value_kind:     hidden_global_offset_y
      - .offset:         128
        .size:           8
        .value_kind:     hidden_global_offset_z
      - .offset:         136
        .size:           2
        .value_kind:     hidden_grid_dims
    .group_segment_fixed_size: 0
    .kernarg_segment_align: 8
    .kernarg_segment_size: 328
    .language:       OpenCL C
    .language_version:
      - 2
      - 0
    .max_flat_workgroup_size: 256
    .name:           _ZN2at6native12_GLOBAL__N_143distribution_elementwise_grid_stride_kernelIfLi4EZNS0_9templates4cuda21uniform_and_transformIN3c108BFloat16EfPNS_17CUDAGeneratorImplEZZZNS4_13cauchy_kernelIS9_EEvRNS_18TensorIteratorBaseEddT_ENKUlvE_clEvENKUlvE2_clEvEUlfE_EEvSC_T1_T2_EUlP25hiprandStatePhilox4_32_10E_ZNS1_27distribution_nullary_kernelIS7_f15HIP_vector_typeIdLj2EES9_SL_SG_EEvSC_SI_RKT3_T4_EUlifE_EEvlNS_15PhiloxCudaStateESH_SI_
    .private_segment_fixed_size: 0
    .sgpr_count:     47
    .sgpr_spill_count: 0
    .symbol:         _ZN2at6native12_GLOBAL__N_143distribution_elementwise_grid_stride_kernelIfLi4EZNS0_9templates4cuda21uniform_and_transformIN3c108BFloat16EfPNS_17CUDAGeneratorImplEZZZNS4_13cauchy_kernelIS9_EEvRNS_18TensorIteratorBaseEddT_ENKUlvE_clEvENKUlvE2_clEvEUlfE_EEvSC_T1_T2_EUlP25hiprandStatePhilox4_32_10E_ZNS1_27distribution_nullary_kernelIS7_f15HIP_vector_typeIdLj2EES9_SL_SG_EEvSC_SI_RKT3_T4_EUlifE_EEvlNS_15PhiloxCudaStateESH_SI_.kd
    .uniform_work_group_size: 1
    .uses_dynamic_stack: false
    .vgpr_count:     62
    .vgpr_spill_count: 0
    .wavefront_size: 64
  - .agpr_count:     0
    .args:
      - .offset:         0
        .size:           8
        .value_kind:     by_value
      - .offset:         8
        .size:           32
        .value_kind:     by_value
      - .offset:         40
        .size:           1
        .value_kind:     by_value
      - .offset:         48
        .size:           280
        .value_kind:     by_value
      - .offset:         328
        .size:           4
        .value_kind:     hidden_block_count_x
      - .offset:         332
        .size:           4
        .value_kind:     hidden_block_count_y
      - .offset:         336
        .size:           4
        .value_kind:     hidden_block_count_z
      - .offset:         340
        .size:           2
        .value_kind:     hidden_group_size_x
      - .offset:         342
        .size:           2
        .value_kind:     hidden_group_size_y
      - .offset:         344
        .size:           2
        .value_kind:     hidden_group_size_z
      - .offset:         346
        .size:           2
        .value_kind:     hidden_remainder_x
      - .offset:         348
        .size:           2
        .value_kind:     hidden_remainder_y
      - .offset:         350
        .size:           2
        .value_kind:     hidden_remainder_z
      - .offset:         368
        .size:           8
        .value_kind:     hidden_global_offset_x
      - .offset:         376
        .size:           8
        .value_kind:     hidden_global_offset_y
      - .offset:         384
        .size:           8
        .value_kind:     hidden_global_offset_z
      - .offset:         392
        .size:           2
        .value_kind:     hidden_grid_dims
    .group_segment_fixed_size: 0
    .kernarg_segment_align: 8
    .kernarg_segment_size: 584
    .language:       OpenCL C
    .language_version:
      - 2
      - 0
    .max_flat_workgroup_size: 256
    .name:           _ZN2at6native12_GLOBAL__N_143distribution_elementwise_grid_stride_kernelIfLi4EZNS0_9templates4cuda21uniform_and_transformIN3c108BFloat16EfPNS_17CUDAGeneratorImplEZZZNS4_13cauchy_kernelIS9_EEvRNS_18TensorIteratorBaseEddT_ENKUlvE_clEvENKUlvE2_clEvEUlfE_EEvSC_T1_T2_EUlP25hiprandStatePhilox4_32_10E_ZNS1_27distribution_nullary_kernelIS7_f15HIP_vector_typeIdLj2EES9_SL_SG_EEvSC_SI_RKT3_T4_EUlifE0_EEvlNS_15PhiloxCudaStateESH_SI_
    .private_segment_fixed_size: 0
    .sgpr_count:     82
    .sgpr_spill_count: 0
    .symbol:         _ZN2at6native12_GLOBAL__N_143distribution_elementwise_grid_stride_kernelIfLi4EZNS0_9templates4cuda21uniform_and_transformIN3c108BFloat16EfPNS_17CUDAGeneratorImplEZZZNS4_13cauchy_kernelIS9_EEvRNS_18TensorIteratorBaseEddT_ENKUlvE_clEvENKUlvE2_clEvEUlfE_EEvSC_T1_T2_EUlP25hiprandStatePhilox4_32_10E_ZNS1_27distribution_nullary_kernelIS7_f15HIP_vector_typeIdLj2EES9_SL_SG_EEvSC_SI_RKT3_T4_EUlifE0_EEvlNS_15PhiloxCudaStateESH_SI_.kd
    .uniform_work_group_size: 1
    .uses_dynamic_stack: false
    .vgpr_count:     62
    .vgpr_spill_count: 0
    .wavefront_size: 64
  - .agpr_count:     0
    .args:
      - .offset:         0
        .size:           8
        .value_kind:     by_value
      - .offset:         8
        .size:           32
        .value_kind:     by_value
      - .offset:         40
        .size:           1
        .value_kind:     by_value
      - .offset:         48
        .size:           24
        .value_kind:     by_value
      - .offset:         72
        .size:           4
        .value_kind:     hidden_block_count_x
      - .offset:         76
        .size:           4
        .value_kind:     hidden_block_count_y
      - .offset:         80
        .size:           4
        .value_kind:     hidden_block_count_z
      - .offset:         84
        .size:           2
        .value_kind:     hidden_group_size_x
      - .offset:         86
        .size:           2
        .value_kind:     hidden_group_size_y
      - .offset:         88
        .size:           2
        .value_kind:     hidden_group_size_z
      - .offset:         90
        .size:           2
        .value_kind:     hidden_remainder_x
      - .offset:         92
        .size:           2
        .value_kind:     hidden_remainder_y
      - .offset:         94
        .size:           2
        .value_kind:     hidden_remainder_z
      - .offset:         112
        .size:           8
        .value_kind:     hidden_global_offset_x
      - .offset:         120
        .size:           8
        .value_kind:     hidden_global_offset_y
      - .offset:         128
        .size:           8
        .value_kind:     hidden_global_offset_z
      - .offset:         136
        .size:           2
        .value_kind:     hidden_grid_dims
    .group_segment_fixed_size: 0
    .kernarg_segment_align: 8
    .kernarg_segment_size: 328
    .language:       OpenCL C
    .language_version:
      - 2
      - 0
    .max_flat_workgroup_size: 256
    .name:           _ZN2at6native12_GLOBAL__N_143distribution_elementwise_grid_stride_kernelIfLi4EZNS0_9templates4cuda21uniform_and_transformIN3c108BFloat16EfPNS_17CUDAGeneratorImplEZZZNS4_13cauchy_kernelIS9_EEvRNS_18TensorIteratorBaseEddT_ENKUlvE_clEvENKUlvE2_clEvEUlfE_EEvSC_T1_T2_EUlP25hiprandStatePhilox4_32_10E0_ZNS1_27distribution_nullary_kernelIS7_f15HIP_vector_typeIfLj4EES9_SL_SG_EEvSC_SI_RKT3_T4_EUlifE_EEvlNS_15PhiloxCudaStateESH_SI_
    .private_segment_fixed_size: 0
    .sgpr_count:     51
    .sgpr_spill_count: 0
    .symbol:         _ZN2at6native12_GLOBAL__N_143distribution_elementwise_grid_stride_kernelIfLi4EZNS0_9templates4cuda21uniform_and_transformIN3c108BFloat16EfPNS_17CUDAGeneratorImplEZZZNS4_13cauchy_kernelIS9_EEvRNS_18TensorIteratorBaseEddT_ENKUlvE_clEvENKUlvE2_clEvEUlfE_EEvSC_T1_T2_EUlP25hiprandStatePhilox4_32_10E0_ZNS1_27distribution_nullary_kernelIS7_f15HIP_vector_typeIfLj4EES9_SL_SG_EEvSC_SI_RKT3_T4_EUlifE_EEvlNS_15PhiloxCudaStateESH_SI_.kd
    .uniform_work_group_size: 1
    .uses_dynamic_stack: false
    .vgpr_count:     64
    .vgpr_spill_count: 0
    .wavefront_size: 64
  - .agpr_count:     0
    .args:
      - .offset:         0
        .size:           8
        .value_kind:     by_value
      - .offset:         8
        .size:           32
        .value_kind:     by_value
      - .offset:         40
        .size:           1
        .value_kind:     by_value
      - .offset:         48
        .size:           280
        .value_kind:     by_value
      - .offset:         328
        .size:           4
        .value_kind:     hidden_block_count_x
      - .offset:         332
        .size:           4
        .value_kind:     hidden_block_count_y
      - .offset:         336
        .size:           4
        .value_kind:     hidden_block_count_z
      - .offset:         340
        .size:           2
        .value_kind:     hidden_group_size_x
      - .offset:         342
        .size:           2
        .value_kind:     hidden_group_size_y
      - .offset:         344
        .size:           2
        .value_kind:     hidden_group_size_z
      - .offset:         346
        .size:           2
        .value_kind:     hidden_remainder_x
      - .offset:         348
        .size:           2
        .value_kind:     hidden_remainder_y
      - .offset:         350
        .size:           2
        .value_kind:     hidden_remainder_z
      - .offset:         368
        .size:           8
        .value_kind:     hidden_global_offset_x
      - .offset:         376
        .size:           8
        .value_kind:     hidden_global_offset_y
      - .offset:         384
        .size:           8
        .value_kind:     hidden_global_offset_z
      - .offset:         392
        .size:           2
        .value_kind:     hidden_grid_dims
    .group_segment_fixed_size: 0
    .kernarg_segment_align: 8
    .kernarg_segment_size: 584
    .language:       OpenCL C
    .language_version:
      - 2
      - 0
    .max_flat_workgroup_size: 256
    .name:           _ZN2at6native12_GLOBAL__N_143distribution_elementwise_grid_stride_kernelIfLi4EZNS0_9templates4cuda21uniform_and_transformIN3c108BFloat16EfPNS_17CUDAGeneratorImplEZZZNS4_13cauchy_kernelIS9_EEvRNS_18TensorIteratorBaseEddT_ENKUlvE_clEvENKUlvE2_clEvEUlfE_EEvSC_T1_T2_EUlP25hiprandStatePhilox4_32_10E0_ZNS1_27distribution_nullary_kernelIS7_f15HIP_vector_typeIfLj4EES9_SL_SG_EEvSC_SI_RKT3_T4_EUlifE0_EEvlNS_15PhiloxCudaStateESH_SI_
    .private_segment_fixed_size: 0
    .sgpr_count:     88
    .sgpr_spill_count: 0
    .symbol:         _ZN2at6native12_GLOBAL__N_143distribution_elementwise_grid_stride_kernelIfLi4EZNS0_9templates4cuda21uniform_and_transformIN3c108BFloat16EfPNS_17CUDAGeneratorImplEZZZNS4_13cauchy_kernelIS9_EEvRNS_18TensorIteratorBaseEddT_ENKUlvE_clEvENKUlvE2_clEvEUlfE_EEvSC_T1_T2_EUlP25hiprandStatePhilox4_32_10E0_ZNS1_27distribution_nullary_kernelIS7_f15HIP_vector_typeIfLj4EES9_SL_SG_EEvSC_SI_RKT3_T4_EUlifE0_EEvlNS_15PhiloxCudaStateESH_SI_.kd
    .uniform_work_group_size: 1
    .uses_dynamic_stack: false
    .vgpr_count:     62
    .vgpr_spill_count: 0
    .wavefront_size: 64
amdhsa.target:   amdgcn-amd-amdhsa--gfx90a
amdhsa.version:
  - 1
  - 2
...

	.end_amdgpu_metadata
